;; amdgpu-corpus repo=ROCm/rocThrust kind=compiled arch=gfx90a opt=O3
	.text
	.amdgcn_target "amdgcn-amd-amdhsa--gfx90a"
	.amdhsa_code_object_version 6
	.section	.text._ZN7rocprim17ROCPRIM_400000_NS6detail17trampoline_kernelINS0_14default_configENS1_22reduce_config_selectorIfEEZNS1_11reduce_implILb1ES3_PfS7_fN6thrust23THRUST_200600_302600_NS4plusIfEEEE10hipError_tPvRmT1_T2_T3_mT4_P12ihipStream_tbEUlT_E0_NS1_11comp_targetILNS1_3genE0ELNS1_11target_archE4294967295ELNS1_3gpuE0ELNS1_3repE0EEENS1_30default_config_static_selectorELNS0_4arch9wavefront6targetE1EEEvSF_,"axG",@progbits,_ZN7rocprim17ROCPRIM_400000_NS6detail17trampoline_kernelINS0_14default_configENS1_22reduce_config_selectorIfEEZNS1_11reduce_implILb1ES3_PfS7_fN6thrust23THRUST_200600_302600_NS4plusIfEEEE10hipError_tPvRmT1_T2_T3_mT4_P12ihipStream_tbEUlT_E0_NS1_11comp_targetILNS1_3genE0ELNS1_11target_archE4294967295ELNS1_3gpuE0ELNS1_3repE0EEENS1_30default_config_static_selectorELNS0_4arch9wavefront6targetE1EEEvSF_,comdat
	.protected	_ZN7rocprim17ROCPRIM_400000_NS6detail17trampoline_kernelINS0_14default_configENS1_22reduce_config_selectorIfEEZNS1_11reduce_implILb1ES3_PfS7_fN6thrust23THRUST_200600_302600_NS4plusIfEEEE10hipError_tPvRmT1_T2_T3_mT4_P12ihipStream_tbEUlT_E0_NS1_11comp_targetILNS1_3genE0ELNS1_11target_archE4294967295ELNS1_3gpuE0ELNS1_3repE0EEENS1_30default_config_static_selectorELNS0_4arch9wavefront6targetE1EEEvSF_ ; -- Begin function _ZN7rocprim17ROCPRIM_400000_NS6detail17trampoline_kernelINS0_14default_configENS1_22reduce_config_selectorIfEEZNS1_11reduce_implILb1ES3_PfS7_fN6thrust23THRUST_200600_302600_NS4plusIfEEEE10hipError_tPvRmT1_T2_T3_mT4_P12ihipStream_tbEUlT_E0_NS1_11comp_targetILNS1_3genE0ELNS1_11target_archE4294967295ELNS1_3gpuE0ELNS1_3repE0EEENS1_30default_config_static_selectorELNS0_4arch9wavefront6targetE1EEEvSF_
	.globl	_ZN7rocprim17ROCPRIM_400000_NS6detail17trampoline_kernelINS0_14default_configENS1_22reduce_config_selectorIfEEZNS1_11reduce_implILb1ES3_PfS7_fN6thrust23THRUST_200600_302600_NS4plusIfEEEE10hipError_tPvRmT1_T2_T3_mT4_P12ihipStream_tbEUlT_E0_NS1_11comp_targetILNS1_3genE0ELNS1_11target_archE4294967295ELNS1_3gpuE0ELNS1_3repE0EEENS1_30default_config_static_selectorELNS0_4arch9wavefront6targetE1EEEvSF_
	.p2align	8
	.type	_ZN7rocprim17ROCPRIM_400000_NS6detail17trampoline_kernelINS0_14default_configENS1_22reduce_config_selectorIfEEZNS1_11reduce_implILb1ES3_PfS7_fN6thrust23THRUST_200600_302600_NS4plusIfEEEE10hipError_tPvRmT1_T2_T3_mT4_P12ihipStream_tbEUlT_E0_NS1_11comp_targetILNS1_3genE0ELNS1_11target_archE4294967295ELNS1_3gpuE0ELNS1_3repE0EEENS1_30default_config_static_selectorELNS0_4arch9wavefront6targetE1EEEvSF_,@function
_ZN7rocprim17ROCPRIM_400000_NS6detail17trampoline_kernelINS0_14default_configENS1_22reduce_config_selectorIfEEZNS1_11reduce_implILb1ES3_PfS7_fN6thrust23THRUST_200600_302600_NS4plusIfEEEE10hipError_tPvRmT1_T2_T3_mT4_P12ihipStream_tbEUlT_E0_NS1_11comp_targetILNS1_3genE0ELNS1_11target_archE4294967295ELNS1_3gpuE0ELNS1_3repE0EEENS1_30default_config_static_selectorELNS0_4arch9wavefront6targetE1EEEvSF_: ; @_ZN7rocprim17ROCPRIM_400000_NS6detail17trampoline_kernelINS0_14default_configENS1_22reduce_config_selectorIfEEZNS1_11reduce_implILb1ES3_PfS7_fN6thrust23THRUST_200600_302600_NS4plusIfEEEE10hipError_tPvRmT1_T2_T3_mT4_P12ihipStream_tbEUlT_E0_NS1_11comp_targetILNS1_3genE0ELNS1_11target_archE4294967295ELNS1_3gpuE0ELNS1_3repE0EEENS1_30default_config_static_selectorELNS0_4arch9wavefront6targetE1EEEvSF_
; %bb.0:
	.section	.rodata,"a",@progbits
	.p2align	6, 0x0
	.amdhsa_kernel _ZN7rocprim17ROCPRIM_400000_NS6detail17trampoline_kernelINS0_14default_configENS1_22reduce_config_selectorIfEEZNS1_11reduce_implILb1ES3_PfS7_fN6thrust23THRUST_200600_302600_NS4plusIfEEEE10hipError_tPvRmT1_T2_T3_mT4_P12ihipStream_tbEUlT_E0_NS1_11comp_targetILNS1_3genE0ELNS1_11target_archE4294967295ELNS1_3gpuE0ELNS1_3repE0EEENS1_30default_config_static_selectorELNS0_4arch9wavefront6targetE1EEEvSF_
		.amdhsa_group_segment_fixed_size 0
		.amdhsa_private_segment_fixed_size 0
		.amdhsa_kernarg_size 56
		.amdhsa_user_sgpr_count 6
		.amdhsa_user_sgpr_private_segment_buffer 1
		.amdhsa_user_sgpr_dispatch_ptr 0
		.amdhsa_user_sgpr_queue_ptr 0
		.amdhsa_user_sgpr_kernarg_segment_ptr 1
		.amdhsa_user_sgpr_dispatch_id 0
		.amdhsa_user_sgpr_flat_scratch_init 0
		.amdhsa_user_sgpr_kernarg_preload_length 0
		.amdhsa_user_sgpr_kernarg_preload_offset 0
		.amdhsa_user_sgpr_private_segment_size 0
		.amdhsa_uses_dynamic_stack 0
		.amdhsa_system_sgpr_private_segment_wavefront_offset 0
		.amdhsa_system_sgpr_workgroup_id_x 1
		.amdhsa_system_sgpr_workgroup_id_y 0
		.amdhsa_system_sgpr_workgroup_id_z 0
		.amdhsa_system_sgpr_workgroup_info 0
		.amdhsa_system_vgpr_workitem_id 0
		.amdhsa_next_free_vgpr 1
		.amdhsa_next_free_sgpr 0
		.amdhsa_accum_offset 4
		.amdhsa_reserve_vcc 0
		.amdhsa_reserve_flat_scratch 0
		.amdhsa_float_round_mode_32 0
		.amdhsa_float_round_mode_16_64 0
		.amdhsa_float_denorm_mode_32 3
		.amdhsa_float_denorm_mode_16_64 3
		.amdhsa_dx10_clamp 1
		.amdhsa_ieee_mode 1
		.amdhsa_fp16_overflow 0
		.amdhsa_tg_split 0
		.amdhsa_exception_fp_ieee_invalid_op 0
		.amdhsa_exception_fp_denorm_src 0
		.amdhsa_exception_fp_ieee_div_zero 0
		.amdhsa_exception_fp_ieee_overflow 0
		.amdhsa_exception_fp_ieee_underflow 0
		.amdhsa_exception_fp_ieee_inexact 0
		.amdhsa_exception_int_div_zero 0
	.end_amdhsa_kernel
	.section	.text._ZN7rocprim17ROCPRIM_400000_NS6detail17trampoline_kernelINS0_14default_configENS1_22reduce_config_selectorIfEEZNS1_11reduce_implILb1ES3_PfS7_fN6thrust23THRUST_200600_302600_NS4plusIfEEEE10hipError_tPvRmT1_T2_T3_mT4_P12ihipStream_tbEUlT_E0_NS1_11comp_targetILNS1_3genE0ELNS1_11target_archE4294967295ELNS1_3gpuE0ELNS1_3repE0EEENS1_30default_config_static_selectorELNS0_4arch9wavefront6targetE1EEEvSF_,"axG",@progbits,_ZN7rocprim17ROCPRIM_400000_NS6detail17trampoline_kernelINS0_14default_configENS1_22reduce_config_selectorIfEEZNS1_11reduce_implILb1ES3_PfS7_fN6thrust23THRUST_200600_302600_NS4plusIfEEEE10hipError_tPvRmT1_T2_T3_mT4_P12ihipStream_tbEUlT_E0_NS1_11comp_targetILNS1_3genE0ELNS1_11target_archE4294967295ELNS1_3gpuE0ELNS1_3repE0EEENS1_30default_config_static_selectorELNS0_4arch9wavefront6targetE1EEEvSF_,comdat
.Lfunc_end0:
	.size	_ZN7rocprim17ROCPRIM_400000_NS6detail17trampoline_kernelINS0_14default_configENS1_22reduce_config_selectorIfEEZNS1_11reduce_implILb1ES3_PfS7_fN6thrust23THRUST_200600_302600_NS4plusIfEEEE10hipError_tPvRmT1_T2_T3_mT4_P12ihipStream_tbEUlT_E0_NS1_11comp_targetILNS1_3genE0ELNS1_11target_archE4294967295ELNS1_3gpuE0ELNS1_3repE0EEENS1_30default_config_static_selectorELNS0_4arch9wavefront6targetE1EEEvSF_, .Lfunc_end0-_ZN7rocprim17ROCPRIM_400000_NS6detail17trampoline_kernelINS0_14default_configENS1_22reduce_config_selectorIfEEZNS1_11reduce_implILb1ES3_PfS7_fN6thrust23THRUST_200600_302600_NS4plusIfEEEE10hipError_tPvRmT1_T2_T3_mT4_P12ihipStream_tbEUlT_E0_NS1_11comp_targetILNS1_3genE0ELNS1_11target_archE4294967295ELNS1_3gpuE0ELNS1_3repE0EEENS1_30default_config_static_selectorELNS0_4arch9wavefront6targetE1EEEvSF_
                                        ; -- End function
	.section	.AMDGPU.csdata,"",@progbits
; Kernel info:
; codeLenInByte = 0
; NumSgprs: 4
; NumVgprs: 0
; NumAgprs: 0
; TotalNumVgprs: 0
; ScratchSize: 0
; MemoryBound: 0
; FloatMode: 240
; IeeeMode: 1
; LDSByteSize: 0 bytes/workgroup (compile time only)
; SGPRBlocks: 0
; VGPRBlocks: 0
; NumSGPRsForWavesPerEU: 4
; NumVGPRsForWavesPerEU: 1
; AccumOffset: 4
; Occupancy: 8
; WaveLimiterHint : 0
; COMPUTE_PGM_RSRC2:SCRATCH_EN: 0
; COMPUTE_PGM_RSRC2:USER_SGPR: 6
; COMPUTE_PGM_RSRC2:TRAP_HANDLER: 0
; COMPUTE_PGM_RSRC2:TGID_X_EN: 1
; COMPUTE_PGM_RSRC2:TGID_Y_EN: 0
; COMPUTE_PGM_RSRC2:TGID_Z_EN: 0
; COMPUTE_PGM_RSRC2:TIDIG_COMP_CNT: 0
; COMPUTE_PGM_RSRC3_GFX90A:ACCUM_OFFSET: 0
; COMPUTE_PGM_RSRC3_GFX90A:TG_SPLIT: 0
	.section	.text._ZN7rocprim17ROCPRIM_400000_NS6detail17trampoline_kernelINS0_14default_configENS1_22reduce_config_selectorIfEEZNS1_11reduce_implILb1ES3_PfS7_fN6thrust23THRUST_200600_302600_NS4plusIfEEEE10hipError_tPvRmT1_T2_T3_mT4_P12ihipStream_tbEUlT_E0_NS1_11comp_targetILNS1_3genE5ELNS1_11target_archE942ELNS1_3gpuE9ELNS1_3repE0EEENS1_30default_config_static_selectorELNS0_4arch9wavefront6targetE1EEEvSF_,"axG",@progbits,_ZN7rocprim17ROCPRIM_400000_NS6detail17trampoline_kernelINS0_14default_configENS1_22reduce_config_selectorIfEEZNS1_11reduce_implILb1ES3_PfS7_fN6thrust23THRUST_200600_302600_NS4plusIfEEEE10hipError_tPvRmT1_T2_T3_mT4_P12ihipStream_tbEUlT_E0_NS1_11comp_targetILNS1_3genE5ELNS1_11target_archE942ELNS1_3gpuE9ELNS1_3repE0EEENS1_30default_config_static_selectorELNS0_4arch9wavefront6targetE1EEEvSF_,comdat
	.protected	_ZN7rocprim17ROCPRIM_400000_NS6detail17trampoline_kernelINS0_14default_configENS1_22reduce_config_selectorIfEEZNS1_11reduce_implILb1ES3_PfS7_fN6thrust23THRUST_200600_302600_NS4plusIfEEEE10hipError_tPvRmT1_T2_T3_mT4_P12ihipStream_tbEUlT_E0_NS1_11comp_targetILNS1_3genE5ELNS1_11target_archE942ELNS1_3gpuE9ELNS1_3repE0EEENS1_30default_config_static_selectorELNS0_4arch9wavefront6targetE1EEEvSF_ ; -- Begin function _ZN7rocprim17ROCPRIM_400000_NS6detail17trampoline_kernelINS0_14default_configENS1_22reduce_config_selectorIfEEZNS1_11reduce_implILb1ES3_PfS7_fN6thrust23THRUST_200600_302600_NS4plusIfEEEE10hipError_tPvRmT1_T2_T3_mT4_P12ihipStream_tbEUlT_E0_NS1_11comp_targetILNS1_3genE5ELNS1_11target_archE942ELNS1_3gpuE9ELNS1_3repE0EEENS1_30default_config_static_selectorELNS0_4arch9wavefront6targetE1EEEvSF_
	.globl	_ZN7rocprim17ROCPRIM_400000_NS6detail17trampoline_kernelINS0_14default_configENS1_22reduce_config_selectorIfEEZNS1_11reduce_implILb1ES3_PfS7_fN6thrust23THRUST_200600_302600_NS4plusIfEEEE10hipError_tPvRmT1_T2_T3_mT4_P12ihipStream_tbEUlT_E0_NS1_11comp_targetILNS1_3genE5ELNS1_11target_archE942ELNS1_3gpuE9ELNS1_3repE0EEENS1_30default_config_static_selectorELNS0_4arch9wavefront6targetE1EEEvSF_
	.p2align	8
	.type	_ZN7rocprim17ROCPRIM_400000_NS6detail17trampoline_kernelINS0_14default_configENS1_22reduce_config_selectorIfEEZNS1_11reduce_implILb1ES3_PfS7_fN6thrust23THRUST_200600_302600_NS4plusIfEEEE10hipError_tPvRmT1_T2_T3_mT4_P12ihipStream_tbEUlT_E0_NS1_11comp_targetILNS1_3genE5ELNS1_11target_archE942ELNS1_3gpuE9ELNS1_3repE0EEENS1_30default_config_static_selectorELNS0_4arch9wavefront6targetE1EEEvSF_,@function
_ZN7rocprim17ROCPRIM_400000_NS6detail17trampoline_kernelINS0_14default_configENS1_22reduce_config_selectorIfEEZNS1_11reduce_implILb1ES3_PfS7_fN6thrust23THRUST_200600_302600_NS4plusIfEEEE10hipError_tPvRmT1_T2_T3_mT4_P12ihipStream_tbEUlT_E0_NS1_11comp_targetILNS1_3genE5ELNS1_11target_archE942ELNS1_3gpuE9ELNS1_3repE0EEENS1_30default_config_static_selectorELNS0_4arch9wavefront6targetE1EEEvSF_: ; @_ZN7rocprim17ROCPRIM_400000_NS6detail17trampoline_kernelINS0_14default_configENS1_22reduce_config_selectorIfEEZNS1_11reduce_implILb1ES3_PfS7_fN6thrust23THRUST_200600_302600_NS4plusIfEEEE10hipError_tPvRmT1_T2_T3_mT4_P12ihipStream_tbEUlT_E0_NS1_11comp_targetILNS1_3genE5ELNS1_11target_archE942ELNS1_3gpuE9ELNS1_3repE0EEENS1_30default_config_static_selectorELNS0_4arch9wavefront6targetE1EEEvSF_
; %bb.0:
	.section	.rodata,"a",@progbits
	.p2align	6, 0x0
	.amdhsa_kernel _ZN7rocprim17ROCPRIM_400000_NS6detail17trampoline_kernelINS0_14default_configENS1_22reduce_config_selectorIfEEZNS1_11reduce_implILb1ES3_PfS7_fN6thrust23THRUST_200600_302600_NS4plusIfEEEE10hipError_tPvRmT1_T2_T3_mT4_P12ihipStream_tbEUlT_E0_NS1_11comp_targetILNS1_3genE5ELNS1_11target_archE942ELNS1_3gpuE9ELNS1_3repE0EEENS1_30default_config_static_selectorELNS0_4arch9wavefront6targetE1EEEvSF_
		.amdhsa_group_segment_fixed_size 0
		.amdhsa_private_segment_fixed_size 0
		.amdhsa_kernarg_size 56
		.amdhsa_user_sgpr_count 6
		.amdhsa_user_sgpr_private_segment_buffer 1
		.amdhsa_user_sgpr_dispatch_ptr 0
		.amdhsa_user_sgpr_queue_ptr 0
		.amdhsa_user_sgpr_kernarg_segment_ptr 1
		.amdhsa_user_sgpr_dispatch_id 0
		.amdhsa_user_sgpr_flat_scratch_init 0
		.amdhsa_user_sgpr_kernarg_preload_length 0
		.amdhsa_user_sgpr_kernarg_preload_offset 0
		.amdhsa_user_sgpr_private_segment_size 0
		.amdhsa_uses_dynamic_stack 0
		.amdhsa_system_sgpr_private_segment_wavefront_offset 0
		.amdhsa_system_sgpr_workgroup_id_x 1
		.amdhsa_system_sgpr_workgroup_id_y 0
		.amdhsa_system_sgpr_workgroup_id_z 0
		.amdhsa_system_sgpr_workgroup_info 0
		.amdhsa_system_vgpr_workitem_id 0
		.amdhsa_next_free_vgpr 1
		.amdhsa_next_free_sgpr 0
		.amdhsa_accum_offset 4
		.amdhsa_reserve_vcc 0
		.amdhsa_reserve_flat_scratch 0
		.amdhsa_float_round_mode_32 0
		.amdhsa_float_round_mode_16_64 0
		.amdhsa_float_denorm_mode_32 3
		.amdhsa_float_denorm_mode_16_64 3
		.amdhsa_dx10_clamp 1
		.amdhsa_ieee_mode 1
		.amdhsa_fp16_overflow 0
		.amdhsa_tg_split 0
		.amdhsa_exception_fp_ieee_invalid_op 0
		.amdhsa_exception_fp_denorm_src 0
		.amdhsa_exception_fp_ieee_div_zero 0
		.amdhsa_exception_fp_ieee_overflow 0
		.amdhsa_exception_fp_ieee_underflow 0
		.amdhsa_exception_fp_ieee_inexact 0
		.amdhsa_exception_int_div_zero 0
	.end_amdhsa_kernel
	.section	.text._ZN7rocprim17ROCPRIM_400000_NS6detail17trampoline_kernelINS0_14default_configENS1_22reduce_config_selectorIfEEZNS1_11reduce_implILb1ES3_PfS7_fN6thrust23THRUST_200600_302600_NS4plusIfEEEE10hipError_tPvRmT1_T2_T3_mT4_P12ihipStream_tbEUlT_E0_NS1_11comp_targetILNS1_3genE5ELNS1_11target_archE942ELNS1_3gpuE9ELNS1_3repE0EEENS1_30default_config_static_selectorELNS0_4arch9wavefront6targetE1EEEvSF_,"axG",@progbits,_ZN7rocprim17ROCPRIM_400000_NS6detail17trampoline_kernelINS0_14default_configENS1_22reduce_config_selectorIfEEZNS1_11reduce_implILb1ES3_PfS7_fN6thrust23THRUST_200600_302600_NS4plusIfEEEE10hipError_tPvRmT1_T2_T3_mT4_P12ihipStream_tbEUlT_E0_NS1_11comp_targetILNS1_3genE5ELNS1_11target_archE942ELNS1_3gpuE9ELNS1_3repE0EEENS1_30default_config_static_selectorELNS0_4arch9wavefront6targetE1EEEvSF_,comdat
.Lfunc_end1:
	.size	_ZN7rocprim17ROCPRIM_400000_NS6detail17trampoline_kernelINS0_14default_configENS1_22reduce_config_selectorIfEEZNS1_11reduce_implILb1ES3_PfS7_fN6thrust23THRUST_200600_302600_NS4plusIfEEEE10hipError_tPvRmT1_T2_T3_mT4_P12ihipStream_tbEUlT_E0_NS1_11comp_targetILNS1_3genE5ELNS1_11target_archE942ELNS1_3gpuE9ELNS1_3repE0EEENS1_30default_config_static_selectorELNS0_4arch9wavefront6targetE1EEEvSF_, .Lfunc_end1-_ZN7rocprim17ROCPRIM_400000_NS6detail17trampoline_kernelINS0_14default_configENS1_22reduce_config_selectorIfEEZNS1_11reduce_implILb1ES3_PfS7_fN6thrust23THRUST_200600_302600_NS4plusIfEEEE10hipError_tPvRmT1_T2_T3_mT4_P12ihipStream_tbEUlT_E0_NS1_11comp_targetILNS1_3genE5ELNS1_11target_archE942ELNS1_3gpuE9ELNS1_3repE0EEENS1_30default_config_static_selectorELNS0_4arch9wavefront6targetE1EEEvSF_
                                        ; -- End function
	.section	.AMDGPU.csdata,"",@progbits
; Kernel info:
; codeLenInByte = 0
; NumSgprs: 4
; NumVgprs: 0
; NumAgprs: 0
; TotalNumVgprs: 0
; ScratchSize: 0
; MemoryBound: 0
; FloatMode: 240
; IeeeMode: 1
; LDSByteSize: 0 bytes/workgroup (compile time only)
; SGPRBlocks: 0
; VGPRBlocks: 0
; NumSGPRsForWavesPerEU: 4
; NumVGPRsForWavesPerEU: 1
; AccumOffset: 4
; Occupancy: 8
; WaveLimiterHint : 0
; COMPUTE_PGM_RSRC2:SCRATCH_EN: 0
; COMPUTE_PGM_RSRC2:USER_SGPR: 6
; COMPUTE_PGM_RSRC2:TRAP_HANDLER: 0
; COMPUTE_PGM_RSRC2:TGID_X_EN: 1
; COMPUTE_PGM_RSRC2:TGID_Y_EN: 0
; COMPUTE_PGM_RSRC2:TGID_Z_EN: 0
; COMPUTE_PGM_RSRC2:TIDIG_COMP_CNT: 0
; COMPUTE_PGM_RSRC3_GFX90A:ACCUM_OFFSET: 0
; COMPUTE_PGM_RSRC3_GFX90A:TG_SPLIT: 0
	.section	.text._ZN7rocprim17ROCPRIM_400000_NS6detail17trampoline_kernelINS0_14default_configENS1_22reduce_config_selectorIfEEZNS1_11reduce_implILb1ES3_PfS7_fN6thrust23THRUST_200600_302600_NS4plusIfEEEE10hipError_tPvRmT1_T2_T3_mT4_P12ihipStream_tbEUlT_E0_NS1_11comp_targetILNS1_3genE4ELNS1_11target_archE910ELNS1_3gpuE8ELNS1_3repE0EEENS1_30default_config_static_selectorELNS0_4arch9wavefront6targetE1EEEvSF_,"axG",@progbits,_ZN7rocprim17ROCPRIM_400000_NS6detail17trampoline_kernelINS0_14default_configENS1_22reduce_config_selectorIfEEZNS1_11reduce_implILb1ES3_PfS7_fN6thrust23THRUST_200600_302600_NS4plusIfEEEE10hipError_tPvRmT1_T2_T3_mT4_P12ihipStream_tbEUlT_E0_NS1_11comp_targetILNS1_3genE4ELNS1_11target_archE910ELNS1_3gpuE8ELNS1_3repE0EEENS1_30default_config_static_selectorELNS0_4arch9wavefront6targetE1EEEvSF_,comdat
	.protected	_ZN7rocprim17ROCPRIM_400000_NS6detail17trampoline_kernelINS0_14default_configENS1_22reduce_config_selectorIfEEZNS1_11reduce_implILb1ES3_PfS7_fN6thrust23THRUST_200600_302600_NS4plusIfEEEE10hipError_tPvRmT1_T2_T3_mT4_P12ihipStream_tbEUlT_E0_NS1_11comp_targetILNS1_3genE4ELNS1_11target_archE910ELNS1_3gpuE8ELNS1_3repE0EEENS1_30default_config_static_selectorELNS0_4arch9wavefront6targetE1EEEvSF_ ; -- Begin function _ZN7rocprim17ROCPRIM_400000_NS6detail17trampoline_kernelINS0_14default_configENS1_22reduce_config_selectorIfEEZNS1_11reduce_implILb1ES3_PfS7_fN6thrust23THRUST_200600_302600_NS4plusIfEEEE10hipError_tPvRmT1_T2_T3_mT4_P12ihipStream_tbEUlT_E0_NS1_11comp_targetILNS1_3genE4ELNS1_11target_archE910ELNS1_3gpuE8ELNS1_3repE0EEENS1_30default_config_static_selectorELNS0_4arch9wavefront6targetE1EEEvSF_
	.globl	_ZN7rocprim17ROCPRIM_400000_NS6detail17trampoline_kernelINS0_14default_configENS1_22reduce_config_selectorIfEEZNS1_11reduce_implILb1ES3_PfS7_fN6thrust23THRUST_200600_302600_NS4plusIfEEEE10hipError_tPvRmT1_T2_T3_mT4_P12ihipStream_tbEUlT_E0_NS1_11comp_targetILNS1_3genE4ELNS1_11target_archE910ELNS1_3gpuE8ELNS1_3repE0EEENS1_30default_config_static_selectorELNS0_4arch9wavefront6targetE1EEEvSF_
	.p2align	8
	.type	_ZN7rocprim17ROCPRIM_400000_NS6detail17trampoline_kernelINS0_14default_configENS1_22reduce_config_selectorIfEEZNS1_11reduce_implILb1ES3_PfS7_fN6thrust23THRUST_200600_302600_NS4plusIfEEEE10hipError_tPvRmT1_T2_T3_mT4_P12ihipStream_tbEUlT_E0_NS1_11comp_targetILNS1_3genE4ELNS1_11target_archE910ELNS1_3gpuE8ELNS1_3repE0EEENS1_30default_config_static_selectorELNS0_4arch9wavefront6targetE1EEEvSF_,@function
_ZN7rocprim17ROCPRIM_400000_NS6detail17trampoline_kernelINS0_14default_configENS1_22reduce_config_selectorIfEEZNS1_11reduce_implILb1ES3_PfS7_fN6thrust23THRUST_200600_302600_NS4plusIfEEEE10hipError_tPvRmT1_T2_T3_mT4_P12ihipStream_tbEUlT_E0_NS1_11comp_targetILNS1_3genE4ELNS1_11target_archE910ELNS1_3gpuE8ELNS1_3repE0EEENS1_30default_config_static_selectorELNS0_4arch9wavefront6targetE1EEEvSF_: ; @_ZN7rocprim17ROCPRIM_400000_NS6detail17trampoline_kernelINS0_14default_configENS1_22reduce_config_selectorIfEEZNS1_11reduce_implILb1ES3_PfS7_fN6thrust23THRUST_200600_302600_NS4plusIfEEEE10hipError_tPvRmT1_T2_T3_mT4_P12ihipStream_tbEUlT_E0_NS1_11comp_targetILNS1_3genE4ELNS1_11target_archE910ELNS1_3gpuE8ELNS1_3repE0EEENS1_30default_config_static_selectorELNS0_4arch9wavefront6targetE1EEEvSF_
; %bb.0:
	s_load_dwordx8 s[12:19], s[4:5], 0x0
	s_load_dwordx4 s[20:23], s[4:5], 0x20
	v_lshlrev_b32_e32 v10, 2, v0
	v_mbcnt_lo_u32_b32 v1, -1, 0
	s_waitcnt lgkmcnt(0)
	s_lshl_b64 s[0:1], s[14:15], 2
	s_add_u32 s10, s12, s0
	s_addc_u32 s11, s13, s1
	s_lshl_b32 s0, s6, 10
	s_mov_b32 s1, 0
	s_lshr_b64 s[2:3], s[16:17], 10
	s_lshl_b64 s[8:9], s[0:1], 2
	s_add_u32 s14, s10, s8
	s_mov_b32 s7, s1
	s_addc_u32 s15, s11, s9
	s_cmp_lg_u64 s[2:3], s[6:7]
	s_cbranch_scc0 .LBB2_6
; %bb.1:
	global_load_dword v2, v10, s[14:15]
	global_load_dword v5, v10, s[14:15] offset:512
	global_load_dword v6, v10, s[14:15] offset:1024
	;; [unrolled: 1-line block ×7, first 2 shown]
	v_mbcnt_hi_u32_b32 v3, -1, v1
	v_lshlrev_b32_e32 v4, 2, v3
	v_cmp_eq_u32_e32 vcc, 0, v3
	s_waitcnt vmcnt(6)
	v_add_f32_e32 v2, v2, v5
	s_waitcnt vmcnt(5)
	v_add_f32_e32 v2, v2, v6
	s_waitcnt vmcnt(4)
	v_add_f32_e32 v2, v2, v7
	s_waitcnt vmcnt(3)
	v_add_f32_e32 v2, v2, v8
	s_waitcnt vmcnt(2)
	v_add_f32_e32 v2, v2, v9
	s_waitcnt vmcnt(1)
	v_add_f32_e32 v2, v2, v11
	s_waitcnt vmcnt(0)
	v_add_f32_e32 v2, v2, v12
	v_or_b32_e32 v5, 0xfc, v4
	s_nop 0
	v_add_f32_dpp v2, v2, v2 quad_perm:[1,0,3,2] row_mask:0xf bank_mask:0xf bound_ctrl:1
	s_nop 1
	v_add_f32_dpp v2, v2, v2 quad_perm:[2,3,0,1] row_mask:0xf bank_mask:0xf bound_ctrl:1
	s_nop 1
	v_add_f32_dpp v2, v2, v2 row_ror:4 row_mask:0xf bank_mask:0xf bound_ctrl:1
	s_nop 1
	v_add_f32_dpp v2, v2, v2 row_ror:8 row_mask:0xf bank_mask:0xf bound_ctrl:1
	s_nop 1
	v_add_f32_dpp v2, v2, v2 row_bcast:15 row_mask:0xf bank_mask:0xf bound_ctrl:1
	s_nop 1
	v_add_f32_dpp v2, v2, v2 row_bcast:31 row_mask:0xf bank_mask:0xf bound_ctrl:1
	ds_bpermute_b32 v2, v5, v2
	s_and_saveexec_b64 s[2:3], vcc
	s_cbranch_execz .LBB2_3
; %bb.2:
	v_lshrrev_b32_e32 v5, 4, v0
	v_and_b32_e32 v5, 4, v5
	s_waitcnt lgkmcnt(0)
	ds_write_b32 v5, v2
.LBB2_3:
	s_or_b64 exec, exec, s[2:3]
	v_cmp_gt_u32_e32 vcc, 64, v0
	s_waitcnt lgkmcnt(0)
	s_barrier
	s_and_saveexec_b64 s[2:3], vcc
	s_cbranch_execz .LBB2_5
; %bb.4:
	v_and_b32_e32 v2, 1, v3
	v_lshlrev_b32_e32 v2, 2, v2
	ds_read_b32 v2, v2
	v_or_b32_e32 v3, 4, v4
	s_waitcnt lgkmcnt(0)
	ds_bpermute_b32 v3, v3, v2
	s_waitcnt lgkmcnt(0)
	v_add_f32_e32 v2, v2, v3
.LBB2_5:
	s_or_b64 exec, exec, s[2:3]
	s_load_dword s26, s[4:5], 0x30
	s_branch .LBB2_28
.LBB2_6:
                                        ; implicit-def: $vgpr2
	s_load_dword s26, s[4:5], 0x30
	s_cbranch_execz .LBB2_28
; %bb.7:
	s_sub_i32 s27, s16, s0
	v_cmp_gt_u32_e32 vcc, s27, v0
                                        ; implicit-def: $vgpr2_vgpr3_vgpr4_vgpr5_vgpr6_vgpr7_vgpr8_vgpr9
	s_and_saveexec_b64 s[0:1], vcc
	s_cbranch_execz .LBB2_9
; %bb.8:
	global_load_dword v2, v10, s[14:15]
.LBB2_9:
	s_or_b64 exec, exec, s[0:1]
	v_or_b32_e32 v11, 0x80, v0
	v_cmp_gt_u32_e32 vcc, s27, v11
	s_and_saveexec_b64 s[0:1], vcc
	s_cbranch_execz .LBB2_11
; %bb.10:
	global_load_dword v3, v10, s[14:15] offset:512
.LBB2_11:
	s_or_b64 exec, exec, s[0:1]
	v_or_b32_e32 v11, 0x100, v0
	v_cmp_gt_u32_e64 s[0:1], s27, v11
	s_and_saveexec_b64 s[2:3], s[0:1]
	s_cbranch_execz .LBB2_13
; %bb.12:
	global_load_dword v4, v10, s[14:15] offset:1024
.LBB2_13:
	s_or_b64 exec, exec, s[2:3]
	v_or_b32_e32 v11, 0x180, v0
	v_cmp_gt_u32_e64 s[2:3], s27, v11
	s_and_saveexec_b64 s[4:5], s[2:3]
	;; [unrolled: 8-line block ×6, first 2 shown]
	s_cbranch_execz .LBB2_23
; %bb.22:
	global_load_dword v9, v10, s[14:15] offset:3584
.LBB2_23:
	s_or_b64 exec, exec, s[24:25]
	s_waitcnt vmcnt(0)
	v_add_f32_e32 v3, v2, v3
	v_cndmask_b32_e32 v2, v2, v3, vcc
	v_add_f32_e32 v3, v4, v2
	v_cndmask_b32_e64 v2, v2, v3, s[0:1]
	v_add_f32_e32 v3, v5, v2
	v_cndmask_b32_e64 v2, v2, v3, s[2:3]
	;; [unrolled: 2-line block ×5, first 2 shown]
	v_add_f32_e32 v3, v9, v2
	v_mbcnt_hi_u32_b32 v1, -1, v1
	v_cndmask_b32_e64 v2, v2, v3, s[12:13]
	v_and_b32_e32 v3, 63, v1
	v_cmp_ne_u32_e32 vcc, 63, v3
	v_addc_co_u32_e32 v4, vcc, 0, v1, vcc
	v_lshlrev_b32_e32 v4, 2, v4
	ds_bpermute_b32 v4, v4, v2
	s_min_u32 s2, s27, 0x80
	v_and_b32_e32 v5, 64, v0
	v_sub_u32_e64 v5, s2, v5 clamp
	v_add_u32_e32 v6, 1, v3
	v_cmp_gt_u32_e64 s[0:1], 62, v3
	v_cmp_lt_u32_e32 vcc, v6, v5
	v_cndmask_b32_e64 v6, 0, 1, s[0:1]
	s_waitcnt lgkmcnt(0)
	v_add_f32_e32 v4, v2, v4
	v_lshlrev_b32_e32 v6, 1, v6
	v_cndmask_b32_e32 v4, v2, v4, vcc
	v_add_lshl_u32 v6, v6, v1, 2
	ds_bpermute_b32 v6, v6, v4
	v_add_u32_e32 v7, 2, v3
	v_cmp_lt_u32_e64 s[0:1], v7, v5
	v_add_u32_e32 v7, 4, v3
	s_waitcnt lgkmcnt(0)
	v_add_f32_e32 v6, v4, v6
	v_cndmask_b32_e64 v4, v4, v6, s[0:1]
	v_cmp_gt_u32_e64 s[0:1], 60, v3
	v_cndmask_b32_e64 v6, 0, 1, s[0:1]
	v_lshlrev_b32_e32 v6, 2, v6
	v_add_lshl_u32 v6, v6, v1, 2
	ds_bpermute_b32 v6, v6, v4
	v_cmp_lt_u32_e64 s[0:1], v7, v5
	v_add_u32_e32 v7, 8, v3
	s_waitcnt lgkmcnt(0)
	v_add_f32_e32 v6, v4, v6
	v_cndmask_b32_e64 v4, v4, v6, s[0:1]
	v_cmp_gt_u32_e64 s[0:1], 56, v3
	v_cndmask_b32_e64 v6, 0, 1, s[0:1]
	v_lshlrev_b32_e32 v6, 3, v6
	v_add_lshl_u32 v6, v6, v1, 2
	ds_bpermute_b32 v6, v6, v4
	;; [unrolled: 10-line block ×3, first 2 shown]
	v_cmp_lt_u32_e64 s[0:1], v7, v5
	s_waitcnt lgkmcnt(0)
	v_add_f32_e32 v6, v4, v6
	v_cndmask_b32_e64 v4, v4, v6, s[0:1]
	v_cmp_gt_u32_e64 s[0:1], 32, v3
	v_cndmask_b32_e64 v6, 0, 1, s[0:1]
	v_lshlrev_b32_e32 v6, 5, v6
	v_add_lshl_u32 v6, v6, v1, 2
	ds_bpermute_b32 v6, v6, v4
	v_add_u32_e32 v3, 32, v3
	v_cmp_lt_u32_e64 s[0:1], v3, v5
	s_waitcnt lgkmcnt(0)
	v_add_f32_e32 v6, v4, v6
	v_cndmask_b32_e64 v3, v4, v6, s[0:1]
	v_cndmask_b32_e32 v2, v2, v3, vcc
	v_cmp_eq_u32_e32 vcc, 0, v1
	s_and_saveexec_b64 s[0:1], vcc
	s_cbranch_execz .LBB2_25
; %bb.24:
	v_lshrrev_b32_e32 v3, 4, v0
	v_and_b32_e32 v3, 4, v3
	ds_write_b32 v3, v2 offset:8
.LBB2_25:
	s_or_b64 exec, exec, s[0:1]
	v_cmp_gt_u32_e32 vcc, 2, v0
	s_waitcnt lgkmcnt(0)
	s_barrier
	s_and_saveexec_b64 s[0:1], vcc
	s_cbranch_execz .LBB2_27
; %bb.26:
	v_lshlrev_b32_e32 v2, 2, v1
	ds_read_b32 v3, v2 offset:8
	v_or_b32_e32 v2, 4, v2
	s_add_i32 s2, s2, 63
	v_and_b32_e32 v1, 1, v1
	s_lshr_b32 s2, s2, 6
	s_waitcnt lgkmcnt(0)
	ds_bpermute_b32 v2, v2, v3
	v_add_u32_e32 v1, 1, v1
	v_cmp_gt_u32_e32 vcc, s2, v1
	s_waitcnt lgkmcnt(0)
	v_add_f32_e32 v2, v3, v2
	v_cndmask_b32_e32 v2, v3, v2, vcc
.LBB2_27:
	s_or_b64 exec, exec, s[0:1]
.LBB2_28:
	v_cmp_eq_u32_e32 vcc, 0, v0
	s_and_saveexec_b64 s[0:1], vcc
	s_cbranch_execnz .LBB2_30
; %bb.29:
	s_endpgm
.LBB2_30:
	s_mul_i32 s0, s22, s21
	s_mul_hi_u32 s1, s22, s20
	s_add_i32 s0, s1, s0
	s_mul_i32 s1, s23, s20
	s_add_i32 s1, s0, s1
	s_mul_i32 s0, s22, s20
	s_lshl_b64 s[0:1], s[0:1], 2
	s_add_u32 s2, s18, s0
	s_addc_u32 s3, s19, s1
	s_cmp_eq_u64 s[16:17], 0
	s_cselect_b64 vcc, -1, 0
	s_lshl_b64 s[0:1], s[6:7], 2
	s_waitcnt lgkmcnt(0)
	v_mov_b32_e32 v0, s26
	s_add_u32 s0, s2, s0
	v_cndmask_b32_e32 v0, v2, v0, vcc
	s_addc_u32 s1, s3, s1
	v_mov_b32_e32 v1, 0
	global_store_dword v1, v0, s[0:1]
	s_endpgm
	.section	.rodata,"a",@progbits
	.p2align	6, 0x0
	.amdhsa_kernel _ZN7rocprim17ROCPRIM_400000_NS6detail17trampoline_kernelINS0_14default_configENS1_22reduce_config_selectorIfEEZNS1_11reduce_implILb1ES3_PfS7_fN6thrust23THRUST_200600_302600_NS4plusIfEEEE10hipError_tPvRmT1_T2_T3_mT4_P12ihipStream_tbEUlT_E0_NS1_11comp_targetILNS1_3genE4ELNS1_11target_archE910ELNS1_3gpuE8ELNS1_3repE0EEENS1_30default_config_static_selectorELNS0_4arch9wavefront6targetE1EEEvSF_
		.amdhsa_group_segment_fixed_size 16
		.amdhsa_private_segment_fixed_size 0
		.amdhsa_kernarg_size 56
		.amdhsa_user_sgpr_count 6
		.amdhsa_user_sgpr_private_segment_buffer 1
		.amdhsa_user_sgpr_dispatch_ptr 0
		.amdhsa_user_sgpr_queue_ptr 0
		.amdhsa_user_sgpr_kernarg_segment_ptr 1
		.amdhsa_user_sgpr_dispatch_id 0
		.amdhsa_user_sgpr_flat_scratch_init 0
		.amdhsa_user_sgpr_kernarg_preload_length 0
		.amdhsa_user_sgpr_kernarg_preload_offset 0
		.amdhsa_user_sgpr_private_segment_size 0
		.amdhsa_uses_dynamic_stack 0
		.amdhsa_system_sgpr_private_segment_wavefront_offset 0
		.amdhsa_system_sgpr_workgroup_id_x 1
		.amdhsa_system_sgpr_workgroup_id_y 0
		.amdhsa_system_sgpr_workgroup_id_z 0
		.amdhsa_system_sgpr_workgroup_info 0
		.amdhsa_system_vgpr_workitem_id 0
		.amdhsa_next_free_vgpr 13
		.amdhsa_next_free_sgpr 28
		.amdhsa_accum_offset 16
		.amdhsa_reserve_vcc 1
		.amdhsa_reserve_flat_scratch 0
		.amdhsa_float_round_mode_32 0
		.amdhsa_float_round_mode_16_64 0
		.amdhsa_float_denorm_mode_32 3
		.amdhsa_float_denorm_mode_16_64 3
		.amdhsa_dx10_clamp 1
		.amdhsa_ieee_mode 1
		.amdhsa_fp16_overflow 0
		.amdhsa_tg_split 0
		.amdhsa_exception_fp_ieee_invalid_op 0
		.amdhsa_exception_fp_denorm_src 0
		.amdhsa_exception_fp_ieee_div_zero 0
		.amdhsa_exception_fp_ieee_overflow 0
		.amdhsa_exception_fp_ieee_underflow 0
		.amdhsa_exception_fp_ieee_inexact 0
		.amdhsa_exception_int_div_zero 0
	.end_amdhsa_kernel
	.section	.text._ZN7rocprim17ROCPRIM_400000_NS6detail17trampoline_kernelINS0_14default_configENS1_22reduce_config_selectorIfEEZNS1_11reduce_implILb1ES3_PfS7_fN6thrust23THRUST_200600_302600_NS4plusIfEEEE10hipError_tPvRmT1_T2_T3_mT4_P12ihipStream_tbEUlT_E0_NS1_11comp_targetILNS1_3genE4ELNS1_11target_archE910ELNS1_3gpuE8ELNS1_3repE0EEENS1_30default_config_static_selectorELNS0_4arch9wavefront6targetE1EEEvSF_,"axG",@progbits,_ZN7rocprim17ROCPRIM_400000_NS6detail17trampoline_kernelINS0_14default_configENS1_22reduce_config_selectorIfEEZNS1_11reduce_implILb1ES3_PfS7_fN6thrust23THRUST_200600_302600_NS4plusIfEEEE10hipError_tPvRmT1_T2_T3_mT4_P12ihipStream_tbEUlT_E0_NS1_11comp_targetILNS1_3genE4ELNS1_11target_archE910ELNS1_3gpuE8ELNS1_3repE0EEENS1_30default_config_static_selectorELNS0_4arch9wavefront6targetE1EEEvSF_,comdat
.Lfunc_end2:
	.size	_ZN7rocprim17ROCPRIM_400000_NS6detail17trampoline_kernelINS0_14default_configENS1_22reduce_config_selectorIfEEZNS1_11reduce_implILb1ES3_PfS7_fN6thrust23THRUST_200600_302600_NS4plusIfEEEE10hipError_tPvRmT1_T2_T3_mT4_P12ihipStream_tbEUlT_E0_NS1_11comp_targetILNS1_3genE4ELNS1_11target_archE910ELNS1_3gpuE8ELNS1_3repE0EEENS1_30default_config_static_selectorELNS0_4arch9wavefront6targetE1EEEvSF_, .Lfunc_end2-_ZN7rocprim17ROCPRIM_400000_NS6detail17trampoline_kernelINS0_14default_configENS1_22reduce_config_selectorIfEEZNS1_11reduce_implILb1ES3_PfS7_fN6thrust23THRUST_200600_302600_NS4plusIfEEEE10hipError_tPvRmT1_T2_T3_mT4_P12ihipStream_tbEUlT_E0_NS1_11comp_targetILNS1_3genE4ELNS1_11target_archE910ELNS1_3gpuE8ELNS1_3repE0EEENS1_30default_config_static_selectorELNS0_4arch9wavefront6targetE1EEEvSF_
                                        ; -- End function
	.section	.AMDGPU.csdata,"",@progbits
; Kernel info:
; codeLenInByte = 1396
; NumSgprs: 32
; NumVgprs: 13
; NumAgprs: 0
; TotalNumVgprs: 13
; ScratchSize: 0
; MemoryBound: 0
; FloatMode: 240
; IeeeMode: 1
; LDSByteSize: 16 bytes/workgroup (compile time only)
; SGPRBlocks: 3
; VGPRBlocks: 1
; NumSGPRsForWavesPerEU: 32
; NumVGPRsForWavesPerEU: 13
; AccumOffset: 16
; Occupancy: 8
; WaveLimiterHint : 1
; COMPUTE_PGM_RSRC2:SCRATCH_EN: 0
; COMPUTE_PGM_RSRC2:USER_SGPR: 6
; COMPUTE_PGM_RSRC2:TRAP_HANDLER: 0
; COMPUTE_PGM_RSRC2:TGID_X_EN: 1
; COMPUTE_PGM_RSRC2:TGID_Y_EN: 0
; COMPUTE_PGM_RSRC2:TGID_Z_EN: 0
; COMPUTE_PGM_RSRC2:TIDIG_COMP_CNT: 0
; COMPUTE_PGM_RSRC3_GFX90A:ACCUM_OFFSET: 3
; COMPUTE_PGM_RSRC3_GFX90A:TG_SPLIT: 0
	.section	.text._ZN7rocprim17ROCPRIM_400000_NS6detail17trampoline_kernelINS0_14default_configENS1_22reduce_config_selectorIfEEZNS1_11reduce_implILb1ES3_PfS7_fN6thrust23THRUST_200600_302600_NS4plusIfEEEE10hipError_tPvRmT1_T2_T3_mT4_P12ihipStream_tbEUlT_E0_NS1_11comp_targetILNS1_3genE3ELNS1_11target_archE908ELNS1_3gpuE7ELNS1_3repE0EEENS1_30default_config_static_selectorELNS0_4arch9wavefront6targetE1EEEvSF_,"axG",@progbits,_ZN7rocprim17ROCPRIM_400000_NS6detail17trampoline_kernelINS0_14default_configENS1_22reduce_config_selectorIfEEZNS1_11reduce_implILb1ES3_PfS7_fN6thrust23THRUST_200600_302600_NS4plusIfEEEE10hipError_tPvRmT1_T2_T3_mT4_P12ihipStream_tbEUlT_E0_NS1_11comp_targetILNS1_3genE3ELNS1_11target_archE908ELNS1_3gpuE7ELNS1_3repE0EEENS1_30default_config_static_selectorELNS0_4arch9wavefront6targetE1EEEvSF_,comdat
	.protected	_ZN7rocprim17ROCPRIM_400000_NS6detail17trampoline_kernelINS0_14default_configENS1_22reduce_config_selectorIfEEZNS1_11reduce_implILb1ES3_PfS7_fN6thrust23THRUST_200600_302600_NS4plusIfEEEE10hipError_tPvRmT1_T2_T3_mT4_P12ihipStream_tbEUlT_E0_NS1_11comp_targetILNS1_3genE3ELNS1_11target_archE908ELNS1_3gpuE7ELNS1_3repE0EEENS1_30default_config_static_selectorELNS0_4arch9wavefront6targetE1EEEvSF_ ; -- Begin function _ZN7rocprim17ROCPRIM_400000_NS6detail17trampoline_kernelINS0_14default_configENS1_22reduce_config_selectorIfEEZNS1_11reduce_implILb1ES3_PfS7_fN6thrust23THRUST_200600_302600_NS4plusIfEEEE10hipError_tPvRmT1_T2_T3_mT4_P12ihipStream_tbEUlT_E0_NS1_11comp_targetILNS1_3genE3ELNS1_11target_archE908ELNS1_3gpuE7ELNS1_3repE0EEENS1_30default_config_static_selectorELNS0_4arch9wavefront6targetE1EEEvSF_
	.globl	_ZN7rocprim17ROCPRIM_400000_NS6detail17trampoline_kernelINS0_14default_configENS1_22reduce_config_selectorIfEEZNS1_11reduce_implILb1ES3_PfS7_fN6thrust23THRUST_200600_302600_NS4plusIfEEEE10hipError_tPvRmT1_T2_T3_mT4_P12ihipStream_tbEUlT_E0_NS1_11comp_targetILNS1_3genE3ELNS1_11target_archE908ELNS1_3gpuE7ELNS1_3repE0EEENS1_30default_config_static_selectorELNS0_4arch9wavefront6targetE1EEEvSF_
	.p2align	8
	.type	_ZN7rocprim17ROCPRIM_400000_NS6detail17trampoline_kernelINS0_14default_configENS1_22reduce_config_selectorIfEEZNS1_11reduce_implILb1ES3_PfS7_fN6thrust23THRUST_200600_302600_NS4plusIfEEEE10hipError_tPvRmT1_T2_T3_mT4_P12ihipStream_tbEUlT_E0_NS1_11comp_targetILNS1_3genE3ELNS1_11target_archE908ELNS1_3gpuE7ELNS1_3repE0EEENS1_30default_config_static_selectorELNS0_4arch9wavefront6targetE1EEEvSF_,@function
_ZN7rocprim17ROCPRIM_400000_NS6detail17trampoline_kernelINS0_14default_configENS1_22reduce_config_selectorIfEEZNS1_11reduce_implILb1ES3_PfS7_fN6thrust23THRUST_200600_302600_NS4plusIfEEEE10hipError_tPvRmT1_T2_T3_mT4_P12ihipStream_tbEUlT_E0_NS1_11comp_targetILNS1_3genE3ELNS1_11target_archE908ELNS1_3gpuE7ELNS1_3repE0EEENS1_30default_config_static_selectorELNS0_4arch9wavefront6targetE1EEEvSF_: ; @_ZN7rocprim17ROCPRIM_400000_NS6detail17trampoline_kernelINS0_14default_configENS1_22reduce_config_selectorIfEEZNS1_11reduce_implILb1ES3_PfS7_fN6thrust23THRUST_200600_302600_NS4plusIfEEEE10hipError_tPvRmT1_T2_T3_mT4_P12ihipStream_tbEUlT_E0_NS1_11comp_targetILNS1_3genE3ELNS1_11target_archE908ELNS1_3gpuE7ELNS1_3repE0EEENS1_30default_config_static_selectorELNS0_4arch9wavefront6targetE1EEEvSF_
; %bb.0:
	.section	.rodata,"a",@progbits
	.p2align	6, 0x0
	.amdhsa_kernel _ZN7rocprim17ROCPRIM_400000_NS6detail17trampoline_kernelINS0_14default_configENS1_22reduce_config_selectorIfEEZNS1_11reduce_implILb1ES3_PfS7_fN6thrust23THRUST_200600_302600_NS4plusIfEEEE10hipError_tPvRmT1_T2_T3_mT4_P12ihipStream_tbEUlT_E0_NS1_11comp_targetILNS1_3genE3ELNS1_11target_archE908ELNS1_3gpuE7ELNS1_3repE0EEENS1_30default_config_static_selectorELNS0_4arch9wavefront6targetE1EEEvSF_
		.amdhsa_group_segment_fixed_size 0
		.amdhsa_private_segment_fixed_size 0
		.amdhsa_kernarg_size 56
		.amdhsa_user_sgpr_count 6
		.amdhsa_user_sgpr_private_segment_buffer 1
		.amdhsa_user_sgpr_dispatch_ptr 0
		.amdhsa_user_sgpr_queue_ptr 0
		.amdhsa_user_sgpr_kernarg_segment_ptr 1
		.amdhsa_user_sgpr_dispatch_id 0
		.amdhsa_user_sgpr_flat_scratch_init 0
		.amdhsa_user_sgpr_kernarg_preload_length 0
		.amdhsa_user_sgpr_kernarg_preload_offset 0
		.amdhsa_user_sgpr_private_segment_size 0
		.amdhsa_uses_dynamic_stack 0
		.amdhsa_system_sgpr_private_segment_wavefront_offset 0
		.amdhsa_system_sgpr_workgroup_id_x 1
		.amdhsa_system_sgpr_workgroup_id_y 0
		.amdhsa_system_sgpr_workgroup_id_z 0
		.amdhsa_system_sgpr_workgroup_info 0
		.amdhsa_system_vgpr_workitem_id 0
		.amdhsa_next_free_vgpr 1
		.amdhsa_next_free_sgpr 0
		.amdhsa_accum_offset 4
		.amdhsa_reserve_vcc 0
		.amdhsa_reserve_flat_scratch 0
		.amdhsa_float_round_mode_32 0
		.amdhsa_float_round_mode_16_64 0
		.amdhsa_float_denorm_mode_32 3
		.amdhsa_float_denorm_mode_16_64 3
		.amdhsa_dx10_clamp 1
		.amdhsa_ieee_mode 1
		.amdhsa_fp16_overflow 0
		.amdhsa_tg_split 0
		.amdhsa_exception_fp_ieee_invalid_op 0
		.amdhsa_exception_fp_denorm_src 0
		.amdhsa_exception_fp_ieee_div_zero 0
		.amdhsa_exception_fp_ieee_overflow 0
		.amdhsa_exception_fp_ieee_underflow 0
		.amdhsa_exception_fp_ieee_inexact 0
		.amdhsa_exception_int_div_zero 0
	.end_amdhsa_kernel
	.section	.text._ZN7rocprim17ROCPRIM_400000_NS6detail17trampoline_kernelINS0_14default_configENS1_22reduce_config_selectorIfEEZNS1_11reduce_implILb1ES3_PfS7_fN6thrust23THRUST_200600_302600_NS4plusIfEEEE10hipError_tPvRmT1_T2_T3_mT4_P12ihipStream_tbEUlT_E0_NS1_11comp_targetILNS1_3genE3ELNS1_11target_archE908ELNS1_3gpuE7ELNS1_3repE0EEENS1_30default_config_static_selectorELNS0_4arch9wavefront6targetE1EEEvSF_,"axG",@progbits,_ZN7rocprim17ROCPRIM_400000_NS6detail17trampoline_kernelINS0_14default_configENS1_22reduce_config_selectorIfEEZNS1_11reduce_implILb1ES3_PfS7_fN6thrust23THRUST_200600_302600_NS4plusIfEEEE10hipError_tPvRmT1_T2_T3_mT4_P12ihipStream_tbEUlT_E0_NS1_11comp_targetILNS1_3genE3ELNS1_11target_archE908ELNS1_3gpuE7ELNS1_3repE0EEENS1_30default_config_static_selectorELNS0_4arch9wavefront6targetE1EEEvSF_,comdat
.Lfunc_end3:
	.size	_ZN7rocprim17ROCPRIM_400000_NS6detail17trampoline_kernelINS0_14default_configENS1_22reduce_config_selectorIfEEZNS1_11reduce_implILb1ES3_PfS7_fN6thrust23THRUST_200600_302600_NS4plusIfEEEE10hipError_tPvRmT1_T2_T3_mT4_P12ihipStream_tbEUlT_E0_NS1_11comp_targetILNS1_3genE3ELNS1_11target_archE908ELNS1_3gpuE7ELNS1_3repE0EEENS1_30default_config_static_selectorELNS0_4arch9wavefront6targetE1EEEvSF_, .Lfunc_end3-_ZN7rocprim17ROCPRIM_400000_NS6detail17trampoline_kernelINS0_14default_configENS1_22reduce_config_selectorIfEEZNS1_11reduce_implILb1ES3_PfS7_fN6thrust23THRUST_200600_302600_NS4plusIfEEEE10hipError_tPvRmT1_T2_T3_mT4_P12ihipStream_tbEUlT_E0_NS1_11comp_targetILNS1_3genE3ELNS1_11target_archE908ELNS1_3gpuE7ELNS1_3repE0EEENS1_30default_config_static_selectorELNS0_4arch9wavefront6targetE1EEEvSF_
                                        ; -- End function
	.section	.AMDGPU.csdata,"",@progbits
; Kernel info:
; codeLenInByte = 0
; NumSgprs: 4
; NumVgprs: 0
; NumAgprs: 0
; TotalNumVgprs: 0
; ScratchSize: 0
; MemoryBound: 0
; FloatMode: 240
; IeeeMode: 1
; LDSByteSize: 0 bytes/workgroup (compile time only)
; SGPRBlocks: 0
; VGPRBlocks: 0
; NumSGPRsForWavesPerEU: 4
; NumVGPRsForWavesPerEU: 1
; AccumOffset: 4
; Occupancy: 8
; WaveLimiterHint : 0
; COMPUTE_PGM_RSRC2:SCRATCH_EN: 0
; COMPUTE_PGM_RSRC2:USER_SGPR: 6
; COMPUTE_PGM_RSRC2:TRAP_HANDLER: 0
; COMPUTE_PGM_RSRC2:TGID_X_EN: 1
; COMPUTE_PGM_RSRC2:TGID_Y_EN: 0
; COMPUTE_PGM_RSRC2:TGID_Z_EN: 0
; COMPUTE_PGM_RSRC2:TIDIG_COMP_CNT: 0
; COMPUTE_PGM_RSRC3_GFX90A:ACCUM_OFFSET: 0
; COMPUTE_PGM_RSRC3_GFX90A:TG_SPLIT: 0
	.section	.text._ZN7rocprim17ROCPRIM_400000_NS6detail17trampoline_kernelINS0_14default_configENS1_22reduce_config_selectorIfEEZNS1_11reduce_implILb1ES3_PfS7_fN6thrust23THRUST_200600_302600_NS4plusIfEEEE10hipError_tPvRmT1_T2_T3_mT4_P12ihipStream_tbEUlT_E0_NS1_11comp_targetILNS1_3genE2ELNS1_11target_archE906ELNS1_3gpuE6ELNS1_3repE0EEENS1_30default_config_static_selectorELNS0_4arch9wavefront6targetE1EEEvSF_,"axG",@progbits,_ZN7rocprim17ROCPRIM_400000_NS6detail17trampoline_kernelINS0_14default_configENS1_22reduce_config_selectorIfEEZNS1_11reduce_implILb1ES3_PfS7_fN6thrust23THRUST_200600_302600_NS4plusIfEEEE10hipError_tPvRmT1_T2_T3_mT4_P12ihipStream_tbEUlT_E0_NS1_11comp_targetILNS1_3genE2ELNS1_11target_archE906ELNS1_3gpuE6ELNS1_3repE0EEENS1_30default_config_static_selectorELNS0_4arch9wavefront6targetE1EEEvSF_,comdat
	.protected	_ZN7rocprim17ROCPRIM_400000_NS6detail17trampoline_kernelINS0_14default_configENS1_22reduce_config_selectorIfEEZNS1_11reduce_implILb1ES3_PfS7_fN6thrust23THRUST_200600_302600_NS4plusIfEEEE10hipError_tPvRmT1_T2_T3_mT4_P12ihipStream_tbEUlT_E0_NS1_11comp_targetILNS1_3genE2ELNS1_11target_archE906ELNS1_3gpuE6ELNS1_3repE0EEENS1_30default_config_static_selectorELNS0_4arch9wavefront6targetE1EEEvSF_ ; -- Begin function _ZN7rocprim17ROCPRIM_400000_NS6detail17trampoline_kernelINS0_14default_configENS1_22reduce_config_selectorIfEEZNS1_11reduce_implILb1ES3_PfS7_fN6thrust23THRUST_200600_302600_NS4plusIfEEEE10hipError_tPvRmT1_T2_T3_mT4_P12ihipStream_tbEUlT_E0_NS1_11comp_targetILNS1_3genE2ELNS1_11target_archE906ELNS1_3gpuE6ELNS1_3repE0EEENS1_30default_config_static_selectorELNS0_4arch9wavefront6targetE1EEEvSF_
	.globl	_ZN7rocprim17ROCPRIM_400000_NS6detail17trampoline_kernelINS0_14default_configENS1_22reduce_config_selectorIfEEZNS1_11reduce_implILb1ES3_PfS7_fN6thrust23THRUST_200600_302600_NS4plusIfEEEE10hipError_tPvRmT1_T2_T3_mT4_P12ihipStream_tbEUlT_E0_NS1_11comp_targetILNS1_3genE2ELNS1_11target_archE906ELNS1_3gpuE6ELNS1_3repE0EEENS1_30default_config_static_selectorELNS0_4arch9wavefront6targetE1EEEvSF_
	.p2align	8
	.type	_ZN7rocprim17ROCPRIM_400000_NS6detail17trampoline_kernelINS0_14default_configENS1_22reduce_config_selectorIfEEZNS1_11reduce_implILb1ES3_PfS7_fN6thrust23THRUST_200600_302600_NS4plusIfEEEE10hipError_tPvRmT1_T2_T3_mT4_P12ihipStream_tbEUlT_E0_NS1_11comp_targetILNS1_3genE2ELNS1_11target_archE906ELNS1_3gpuE6ELNS1_3repE0EEENS1_30default_config_static_selectorELNS0_4arch9wavefront6targetE1EEEvSF_,@function
_ZN7rocprim17ROCPRIM_400000_NS6detail17trampoline_kernelINS0_14default_configENS1_22reduce_config_selectorIfEEZNS1_11reduce_implILb1ES3_PfS7_fN6thrust23THRUST_200600_302600_NS4plusIfEEEE10hipError_tPvRmT1_T2_T3_mT4_P12ihipStream_tbEUlT_E0_NS1_11comp_targetILNS1_3genE2ELNS1_11target_archE906ELNS1_3gpuE6ELNS1_3repE0EEENS1_30default_config_static_selectorELNS0_4arch9wavefront6targetE1EEEvSF_: ; @_ZN7rocprim17ROCPRIM_400000_NS6detail17trampoline_kernelINS0_14default_configENS1_22reduce_config_selectorIfEEZNS1_11reduce_implILb1ES3_PfS7_fN6thrust23THRUST_200600_302600_NS4plusIfEEEE10hipError_tPvRmT1_T2_T3_mT4_P12ihipStream_tbEUlT_E0_NS1_11comp_targetILNS1_3genE2ELNS1_11target_archE906ELNS1_3gpuE6ELNS1_3repE0EEENS1_30default_config_static_selectorELNS0_4arch9wavefront6targetE1EEEvSF_
; %bb.0:
	.section	.rodata,"a",@progbits
	.p2align	6, 0x0
	.amdhsa_kernel _ZN7rocprim17ROCPRIM_400000_NS6detail17trampoline_kernelINS0_14default_configENS1_22reduce_config_selectorIfEEZNS1_11reduce_implILb1ES3_PfS7_fN6thrust23THRUST_200600_302600_NS4plusIfEEEE10hipError_tPvRmT1_T2_T3_mT4_P12ihipStream_tbEUlT_E0_NS1_11comp_targetILNS1_3genE2ELNS1_11target_archE906ELNS1_3gpuE6ELNS1_3repE0EEENS1_30default_config_static_selectorELNS0_4arch9wavefront6targetE1EEEvSF_
		.amdhsa_group_segment_fixed_size 0
		.amdhsa_private_segment_fixed_size 0
		.amdhsa_kernarg_size 56
		.amdhsa_user_sgpr_count 6
		.amdhsa_user_sgpr_private_segment_buffer 1
		.amdhsa_user_sgpr_dispatch_ptr 0
		.amdhsa_user_sgpr_queue_ptr 0
		.amdhsa_user_sgpr_kernarg_segment_ptr 1
		.amdhsa_user_sgpr_dispatch_id 0
		.amdhsa_user_sgpr_flat_scratch_init 0
		.amdhsa_user_sgpr_kernarg_preload_length 0
		.amdhsa_user_sgpr_kernarg_preload_offset 0
		.amdhsa_user_sgpr_private_segment_size 0
		.amdhsa_uses_dynamic_stack 0
		.amdhsa_system_sgpr_private_segment_wavefront_offset 0
		.amdhsa_system_sgpr_workgroup_id_x 1
		.amdhsa_system_sgpr_workgroup_id_y 0
		.amdhsa_system_sgpr_workgroup_id_z 0
		.amdhsa_system_sgpr_workgroup_info 0
		.amdhsa_system_vgpr_workitem_id 0
		.amdhsa_next_free_vgpr 1
		.amdhsa_next_free_sgpr 0
		.amdhsa_accum_offset 4
		.amdhsa_reserve_vcc 0
		.amdhsa_reserve_flat_scratch 0
		.amdhsa_float_round_mode_32 0
		.amdhsa_float_round_mode_16_64 0
		.amdhsa_float_denorm_mode_32 3
		.amdhsa_float_denorm_mode_16_64 3
		.amdhsa_dx10_clamp 1
		.amdhsa_ieee_mode 1
		.amdhsa_fp16_overflow 0
		.amdhsa_tg_split 0
		.amdhsa_exception_fp_ieee_invalid_op 0
		.amdhsa_exception_fp_denorm_src 0
		.amdhsa_exception_fp_ieee_div_zero 0
		.amdhsa_exception_fp_ieee_overflow 0
		.amdhsa_exception_fp_ieee_underflow 0
		.amdhsa_exception_fp_ieee_inexact 0
		.amdhsa_exception_int_div_zero 0
	.end_amdhsa_kernel
	.section	.text._ZN7rocprim17ROCPRIM_400000_NS6detail17trampoline_kernelINS0_14default_configENS1_22reduce_config_selectorIfEEZNS1_11reduce_implILb1ES3_PfS7_fN6thrust23THRUST_200600_302600_NS4plusIfEEEE10hipError_tPvRmT1_T2_T3_mT4_P12ihipStream_tbEUlT_E0_NS1_11comp_targetILNS1_3genE2ELNS1_11target_archE906ELNS1_3gpuE6ELNS1_3repE0EEENS1_30default_config_static_selectorELNS0_4arch9wavefront6targetE1EEEvSF_,"axG",@progbits,_ZN7rocprim17ROCPRIM_400000_NS6detail17trampoline_kernelINS0_14default_configENS1_22reduce_config_selectorIfEEZNS1_11reduce_implILb1ES3_PfS7_fN6thrust23THRUST_200600_302600_NS4plusIfEEEE10hipError_tPvRmT1_T2_T3_mT4_P12ihipStream_tbEUlT_E0_NS1_11comp_targetILNS1_3genE2ELNS1_11target_archE906ELNS1_3gpuE6ELNS1_3repE0EEENS1_30default_config_static_selectorELNS0_4arch9wavefront6targetE1EEEvSF_,comdat
.Lfunc_end4:
	.size	_ZN7rocprim17ROCPRIM_400000_NS6detail17trampoline_kernelINS0_14default_configENS1_22reduce_config_selectorIfEEZNS1_11reduce_implILb1ES3_PfS7_fN6thrust23THRUST_200600_302600_NS4plusIfEEEE10hipError_tPvRmT1_T2_T3_mT4_P12ihipStream_tbEUlT_E0_NS1_11comp_targetILNS1_3genE2ELNS1_11target_archE906ELNS1_3gpuE6ELNS1_3repE0EEENS1_30default_config_static_selectorELNS0_4arch9wavefront6targetE1EEEvSF_, .Lfunc_end4-_ZN7rocprim17ROCPRIM_400000_NS6detail17trampoline_kernelINS0_14default_configENS1_22reduce_config_selectorIfEEZNS1_11reduce_implILb1ES3_PfS7_fN6thrust23THRUST_200600_302600_NS4plusIfEEEE10hipError_tPvRmT1_T2_T3_mT4_P12ihipStream_tbEUlT_E0_NS1_11comp_targetILNS1_3genE2ELNS1_11target_archE906ELNS1_3gpuE6ELNS1_3repE0EEENS1_30default_config_static_selectorELNS0_4arch9wavefront6targetE1EEEvSF_
                                        ; -- End function
	.section	.AMDGPU.csdata,"",@progbits
; Kernel info:
; codeLenInByte = 0
; NumSgprs: 4
; NumVgprs: 0
; NumAgprs: 0
; TotalNumVgprs: 0
; ScratchSize: 0
; MemoryBound: 0
; FloatMode: 240
; IeeeMode: 1
; LDSByteSize: 0 bytes/workgroup (compile time only)
; SGPRBlocks: 0
; VGPRBlocks: 0
; NumSGPRsForWavesPerEU: 4
; NumVGPRsForWavesPerEU: 1
; AccumOffset: 4
; Occupancy: 8
; WaveLimiterHint : 0
; COMPUTE_PGM_RSRC2:SCRATCH_EN: 0
; COMPUTE_PGM_RSRC2:USER_SGPR: 6
; COMPUTE_PGM_RSRC2:TRAP_HANDLER: 0
; COMPUTE_PGM_RSRC2:TGID_X_EN: 1
; COMPUTE_PGM_RSRC2:TGID_Y_EN: 0
; COMPUTE_PGM_RSRC2:TGID_Z_EN: 0
; COMPUTE_PGM_RSRC2:TIDIG_COMP_CNT: 0
; COMPUTE_PGM_RSRC3_GFX90A:ACCUM_OFFSET: 0
; COMPUTE_PGM_RSRC3_GFX90A:TG_SPLIT: 0
	.section	.text._ZN7rocprim17ROCPRIM_400000_NS6detail17trampoline_kernelINS0_14default_configENS1_22reduce_config_selectorIfEEZNS1_11reduce_implILb1ES3_PfS7_fN6thrust23THRUST_200600_302600_NS4plusIfEEEE10hipError_tPvRmT1_T2_T3_mT4_P12ihipStream_tbEUlT_E0_NS1_11comp_targetILNS1_3genE10ELNS1_11target_archE1201ELNS1_3gpuE5ELNS1_3repE0EEENS1_30default_config_static_selectorELNS0_4arch9wavefront6targetE1EEEvSF_,"axG",@progbits,_ZN7rocprim17ROCPRIM_400000_NS6detail17trampoline_kernelINS0_14default_configENS1_22reduce_config_selectorIfEEZNS1_11reduce_implILb1ES3_PfS7_fN6thrust23THRUST_200600_302600_NS4plusIfEEEE10hipError_tPvRmT1_T2_T3_mT4_P12ihipStream_tbEUlT_E0_NS1_11comp_targetILNS1_3genE10ELNS1_11target_archE1201ELNS1_3gpuE5ELNS1_3repE0EEENS1_30default_config_static_selectorELNS0_4arch9wavefront6targetE1EEEvSF_,comdat
	.protected	_ZN7rocprim17ROCPRIM_400000_NS6detail17trampoline_kernelINS0_14default_configENS1_22reduce_config_selectorIfEEZNS1_11reduce_implILb1ES3_PfS7_fN6thrust23THRUST_200600_302600_NS4plusIfEEEE10hipError_tPvRmT1_T2_T3_mT4_P12ihipStream_tbEUlT_E0_NS1_11comp_targetILNS1_3genE10ELNS1_11target_archE1201ELNS1_3gpuE5ELNS1_3repE0EEENS1_30default_config_static_selectorELNS0_4arch9wavefront6targetE1EEEvSF_ ; -- Begin function _ZN7rocprim17ROCPRIM_400000_NS6detail17trampoline_kernelINS0_14default_configENS1_22reduce_config_selectorIfEEZNS1_11reduce_implILb1ES3_PfS7_fN6thrust23THRUST_200600_302600_NS4plusIfEEEE10hipError_tPvRmT1_T2_T3_mT4_P12ihipStream_tbEUlT_E0_NS1_11comp_targetILNS1_3genE10ELNS1_11target_archE1201ELNS1_3gpuE5ELNS1_3repE0EEENS1_30default_config_static_selectorELNS0_4arch9wavefront6targetE1EEEvSF_
	.globl	_ZN7rocprim17ROCPRIM_400000_NS6detail17trampoline_kernelINS0_14default_configENS1_22reduce_config_selectorIfEEZNS1_11reduce_implILb1ES3_PfS7_fN6thrust23THRUST_200600_302600_NS4plusIfEEEE10hipError_tPvRmT1_T2_T3_mT4_P12ihipStream_tbEUlT_E0_NS1_11comp_targetILNS1_3genE10ELNS1_11target_archE1201ELNS1_3gpuE5ELNS1_3repE0EEENS1_30default_config_static_selectorELNS0_4arch9wavefront6targetE1EEEvSF_
	.p2align	8
	.type	_ZN7rocprim17ROCPRIM_400000_NS6detail17trampoline_kernelINS0_14default_configENS1_22reduce_config_selectorIfEEZNS1_11reduce_implILb1ES3_PfS7_fN6thrust23THRUST_200600_302600_NS4plusIfEEEE10hipError_tPvRmT1_T2_T3_mT4_P12ihipStream_tbEUlT_E0_NS1_11comp_targetILNS1_3genE10ELNS1_11target_archE1201ELNS1_3gpuE5ELNS1_3repE0EEENS1_30default_config_static_selectorELNS0_4arch9wavefront6targetE1EEEvSF_,@function
_ZN7rocprim17ROCPRIM_400000_NS6detail17trampoline_kernelINS0_14default_configENS1_22reduce_config_selectorIfEEZNS1_11reduce_implILb1ES3_PfS7_fN6thrust23THRUST_200600_302600_NS4plusIfEEEE10hipError_tPvRmT1_T2_T3_mT4_P12ihipStream_tbEUlT_E0_NS1_11comp_targetILNS1_3genE10ELNS1_11target_archE1201ELNS1_3gpuE5ELNS1_3repE0EEENS1_30default_config_static_selectorELNS0_4arch9wavefront6targetE1EEEvSF_: ; @_ZN7rocprim17ROCPRIM_400000_NS6detail17trampoline_kernelINS0_14default_configENS1_22reduce_config_selectorIfEEZNS1_11reduce_implILb1ES3_PfS7_fN6thrust23THRUST_200600_302600_NS4plusIfEEEE10hipError_tPvRmT1_T2_T3_mT4_P12ihipStream_tbEUlT_E0_NS1_11comp_targetILNS1_3genE10ELNS1_11target_archE1201ELNS1_3gpuE5ELNS1_3repE0EEENS1_30default_config_static_selectorELNS0_4arch9wavefront6targetE1EEEvSF_
; %bb.0:
	.section	.rodata,"a",@progbits
	.p2align	6, 0x0
	.amdhsa_kernel _ZN7rocprim17ROCPRIM_400000_NS6detail17trampoline_kernelINS0_14default_configENS1_22reduce_config_selectorIfEEZNS1_11reduce_implILb1ES3_PfS7_fN6thrust23THRUST_200600_302600_NS4plusIfEEEE10hipError_tPvRmT1_T2_T3_mT4_P12ihipStream_tbEUlT_E0_NS1_11comp_targetILNS1_3genE10ELNS1_11target_archE1201ELNS1_3gpuE5ELNS1_3repE0EEENS1_30default_config_static_selectorELNS0_4arch9wavefront6targetE1EEEvSF_
		.amdhsa_group_segment_fixed_size 0
		.amdhsa_private_segment_fixed_size 0
		.amdhsa_kernarg_size 56
		.amdhsa_user_sgpr_count 6
		.amdhsa_user_sgpr_private_segment_buffer 1
		.amdhsa_user_sgpr_dispatch_ptr 0
		.amdhsa_user_sgpr_queue_ptr 0
		.amdhsa_user_sgpr_kernarg_segment_ptr 1
		.amdhsa_user_sgpr_dispatch_id 0
		.amdhsa_user_sgpr_flat_scratch_init 0
		.amdhsa_user_sgpr_kernarg_preload_length 0
		.amdhsa_user_sgpr_kernarg_preload_offset 0
		.amdhsa_user_sgpr_private_segment_size 0
		.amdhsa_uses_dynamic_stack 0
		.amdhsa_system_sgpr_private_segment_wavefront_offset 0
		.amdhsa_system_sgpr_workgroup_id_x 1
		.amdhsa_system_sgpr_workgroup_id_y 0
		.amdhsa_system_sgpr_workgroup_id_z 0
		.amdhsa_system_sgpr_workgroup_info 0
		.amdhsa_system_vgpr_workitem_id 0
		.amdhsa_next_free_vgpr 1
		.amdhsa_next_free_sgpr 0
		.amdhsa_accum_offset 4
		.amdhsa_reserve_vcc 0
		.amdhsa_reserve_flat_scratch 0
		.amdhsa_float_round_mode_32 0
		.amdhsa_float_round_mode_16_64 0
		.amdhsa_float_denorm_mode_32 3
		.amdhsa_float_denorm_mode_16_64 3
		.amdhsa_dx10_clamp 1
		.amdhsa_ieee_mode 1
		.amdhsa_fp16_overflow 0
		.amdhsa_tg_split 0
		.amdhsa_exception_fp_ieee_invalid_op 0
		.amdhsa_exception_fp_denorm_src 0
		.amdhsa_exception_fp_ieee_div_zero 0
		.amdhsa_exception_fp_ieee_overflow 0
		.amdhsa_exception_fp_ieee_underflow 0
		.amdhsa_exception_fp_ieee_inexact 0
		.amdhsa_exception_int_div_zero 0
	.end_amdhsa_kernel
	.section	.text._ZN7rocprim17ROCPRIM_400000_NS6detail17trampoline_kernelINS0_14default_configENS1_22reduce_config_selectorIfEEZNS1_11reduce_implILb1ES3_PfS7_fN6thrust23THRUST_200600_302600_NS4plusIfEEEE10hipError_tPvRmT1_T2_T3_mT4_P12ihipStream_tbEUlT_E0_NS1_11comp_targetILNS1_3genE10ELNS1_11target_archE1201ELNS1_3gpuE5ELNS1_3repE0EEENS1_30default_config_static_selectorELNS0_4arch9wavefront6targetE1EEEvSF_,"axG",@progbits,_ZN7rocprim17ROCPRIM_400000_NS6detail17trampoline_kernelINS0_14default_configENS1_22reduce_config_selectorIfEEZNS1_11reduce_implILb1ES3_PfS7_fN6thrust23THRUST_200600_302600_NS4plusIfEEEE10hipError_tPvRmT1_T2_T3_mT4_P12ihipStream_tbEUlT_E0_NS1_11comp_targetILNS1_3genE10ELNS1_11target_archE1201ELNS1_3gpuE5ELNS1_3repE0EEENS1_30default_config_static_selectorELNS0_4arch9wavefront6targetE1EEEvSF_,comdat
.Lfunc_end5:
	.size	_ZN7rocprim17ROCPRIM_400000_NS6detail17trampoline_kernelINS0_14default_configENS1_22reduce_config_selectorIfEEZNS1_11reduce_implILb1ES3_PfS7_fN6thrust23THRUST_200600_302600_NS4plusIfEEEE10hipError_tPvRmT1_T2_T3_mT4_P12ihipStream_tbEUlT_E0_NS1_11comp_targetILNS1_3genE10ELNS1_11target_archE1201ELNS1_3gpuE5ELNS1_3repE0EEENS1_30default_config_static_selectorELNS0_4arch9wavefront6targetE1EEEvSF_, .Lfunc_end5-_ZN7rocprim17ROCPRIM_400000_NS6detail17trampoline_kernelINS0_14default_configENS1_22reduce_config_selectorIfEEZNS1_11reduce_implILb1ES3_PfS7_fN6thrust23THRUST_200600_302600_NS4plusIfEEEE10hipError_tPvRmT1_T2_T3_mT4_P12ihipStream_tbEUlT_E0_NS1_11comp_targetILNS1_3genE10ELNS1_11target_archE1201ELNS1_3gpuE5ELNS1_3repE0EEENS1_30default_config_static_selectorELNS0_4arch9wavefront6targetE1EEEvSF_
                                        ; -- End function
	.section	.AMDGPU.csdata,"",@progbits
; Kernel info:
; codeLenInByte = 0
; NumSgprs: 4
; NumVgprs: 0
; NumAgprs: 0
; TotalNumVgprs: 0
; ScratchSize: 0
; MemoryBound: 0
; FloatMode: 240
; IeeeMode: 1
; LDSByteSize: 0 bytes/workgroup (compile time only)
; SGPRBlocks: 0
; VGPRBlocks: 0
; NumSGPRsForWavesPerEU: 4
; NumVGPRsForWavesPerEU: 1
; AccumOffset: 4
; Occupancy: 8
; WaveLimiterHint : 0
; COMPUTE_PGM_RSRC2:SCRATCH_EN: 0
; COMPUTE_PGM_RSRC2:USER_SGPR: 6
; COMPUTE_PGM_RSRC2:TRAP_HANDLER: 0
; COMPUTE_PGM_RSRC2:TGID_X_EN: 1
; COMPUTE_PGM_RSRC2:TGID_Y_EN: 0
; COMPUTE_PGM_RSRC2:TGID_Z_EN: 0
; COMPUTE_PGM_RSRC2:TIDIG_COMP_CNT: 0
; COMPUTE_PGM_RSRC3_GFX90A:ACCUM_OFFSET: 0
; COMPUTE_PGM_RSRC3_GFX90A:TG_SPLIT: 0
	.section	.text._ZN7rocprim17ROCPRIM_400000_NS6detail17trampoline_kernelINS0_14default_configENS1_22reduce_config_selectorIfEEZNS1_11reduce_implILb1ES3_PfS7_fN6thrust23THRUST_200600_302600_NS4plusIfEEEE10hipError_tPvRmT1_T2_T3_mT4_P12ihipStream_tbEUlT_E0_NS1_11comp_targetILNS1_3genE10ELNS1_11target_archE1200ELNS1_3gpuE4ELNS1_3repE0EEENS1_30default_config_static_selectorELNS0_4arch9wavefront6targetE1EEEvSF_,"axG",@progbits,_ZN7rocprim17ROCPRIM_400000_NS6detail17trampoline_kernelINS0_14default_configENS1_22reduce_config_selectorIfEEZNS1_11reduce_implILb1ES3_PfS7_fN6thrust23THRUST_200600_302600_NS4plusIfEEEE10hipError_tPvRmT1_T2_T3_mT4_P12ihipStream_tbEUlT_E0_NS1_11comp_targetILNS1_3genE10ELNS1_11target_archE1200ELNS1_3gpuE4ELNS1_3repE0EEENS1_30default_config_static_selectorELNS0_4arch9wavefront6targetE1EEEvSF_,comdat
	.protected	_ZN7rocprim17ROCPRIM_400000_NS6detail17trampoline_kernelINS0_14default_configENS1_22reduce_config_selectorIfEEZNS1_11reduce_implILb1ES3_PfS7_fN6thrust23THRUST_200600_302600_NS4plusIfEEEE10hipError_tPvRmT1_T2_T3_mT4_P12ihipStream_tbEUlT_E0_NS1_11comp_targetILNS1_3genE10ELNS1_11target_archE1200ELNS1_3gpuE4ELNS1_3repE0EEENS1_30default_config_static_selectorELNS0_4arch9wavefront6targetE1EEEvSF_ ; -- Begin function _ZN7rocprim17ROCPRIM_400000_NS6detail17trampoline_kernelINS0_14default_configENS1_22reduce_config_selectorIfEEZNS1_11reduce_implILb1ES3_PfS7_fN6thrust23THRUST_200600_302600_NS4plusIfEEEE10hipError_tPvRmT1_T2_T3_mT4_P12ihipStream_tbEUlT_E0_NS1_11comp_targetILNS1_3genE10ELNS1_11target_archE1200ELNS1_3gpuE4ELNS1_3repE0EEENS1_30default_config_static_selectorELNS0_4arch9wavefront6targetE1EEEvSF_
	.globl	_ZN7rocprim17ROCPRIM_400000_NS6detail17trampoline_kernelINS0_14default_configENS1_22reduce_config_selectorIfEEZNS1_11reduce_implILb1ES3_PfS7_fN6thrust23THRUST_200600_302600_NS4plusIfEEEE10hipError_tPvRmT1_T2_T3_mT4_P12ihipStream_tbEUlT_E0_NS1_11comp_targetILNS1_3genE10ELNS1_11target_archE1200ELNS1_3gpuE4ELNS1_3repE0EEENS1_30default_config_static_selectorELNS0_4arch9wavefront6targetE1EEEvSF_
	.p2align	8
	.type	_ZN7rocprim17ROCPRIM_400000_NS6detail17trampoline_kernelINS0_14default_configENS1_22reduce_config_selectorIfEEZNS1_11reduce_implILb1ES3_PfS7_fN6thrust23THRUST_200600_302600_NS4plusIfEEEE10hipError_tPvRmT1_T2_T3_mT4_P12ihipStream_tbEUlT_E0_NS1_11comp_targetILNS1_3genE10ELNS1_11target_archE1200ELNS1_3gpuE4ELNS1_3repE0EEENS1_30default_config_static_selectorELNS0_4arch9wavefront6targetE1EEEvSF_,@function
_ZN7rocprim17ROCPRIM_400000_NS6detail17trampoline_kernelINS0_14default_configENS1_22reduce_config_selectorIfEEZNS1_11reduce_implILb1ES3_PfS7_fN6thrust23THRUST_200600_302600_NS4plusIfEEEE10hipError_tPvRmT1_T2_T3_mT4_P12ihipStream_tbEUlT_E0_NS1_11comp_targetILNS1_3genE10ELNS1_11target_archE1200ELNS1_3gpuE4ELNS1_3repE0EEENS1_30default_config_static_selectorELNS0_4arch9wavefront6targetE1EEEvSF_: ; @_ZN7rocprim17ROCPRIM_400000_NS6detail17trampoline_kernelINS0_14default_configENS1_22reduce_config_selectorIfEEZNS1_11reduce_implILb1ES3_PfS7_fN6thrust23THRUST_200600_302600_NS4plusIfEEEE10hipError_tPvRmT1_T2_T3_mT4_P12ihipStream_tbEUlT_E0_NS1_11comp_targetILNS1_3genE10ELNS1_11target_archE1200ELNS1_3gpuE4ELNS1_3repE0EEENS1_30default_config_static_selectorELNS0_4arch9wavefront6targetE1EEEvSF_
; %bb.0:
	.section	.rodata,"a",@progbits
	.p2align	6, 0x0
	.amdhsa_kernel _ZN7rocprim17ROCPRIM_400000_NS6detail17trampoline_kernelINS0_14default_configENS1_22reduce_config_selectorIfEEZNS1_11reduce_implILb1ES3_PfS7_fN6thrust23THRUST_200600_302600_NS4plusIfEEEE10hipError_tPvRmT1_T2_T3_mT4_P12ihipStream_tbEUlT_E0_NS1_11comp_targetILNS1_3genE10ELNS1_11target_archE1200ELNS1_3gpuE4ELNS1_3repE0EEENS1_30default_config_static_selectorELNS0_4arch9wavefront6targetE1EEEvSF_
		.amdhsa_group_segment_fixed_size 0
		.amdhsa_private_segment_fixed_size 0
		.amdhsa_kernarg_size 56
		.amdhsa_user_sgpr_count 6
		.amdhsa_user_sgpr_private_segment_buffer 1
		.amdhsa_user_sgpr_dispatch_ptr 0
		.amdhsa_user_sgpr_queue_ptr 0
		.amdhsa_user_sgpr_kernarg_segment_ptr 1
		.amdhsa_user_sgpr_dispatch_id 0
		.amdhsa_user_sgpr_flat_scratch_init 0
		.amdhsa_user_sgpr_kernarg_preload_length 0
		.amdhsa_user_sgpr_kernarg_preload_offset 0
		.amdhsa_user_sgpr_private_segment_size 0
		.amdhsa_uses_dynamic_stack 0
		.amdhsa_system_sgpr_private_segment_wavefront_offset 0
		.amdhsa_system_sgpr_workgroup_id_x 1
		.amdhsa_system_sgpr_workgroup_id_y 0
		.amdhsa_system_sgpr_workgroup_id_z 0
		.amdhsa_system_sgpr_workgroup_info 0
		.amdhsa_system_vgpr_workitem_id 0
		.amdhsa_next_free_vgpr 1
		.amdhsa_next_free_sgpr 0
		.amdhsa_accum_offset 4
		.amdhsa_reserve_vcc 0
		.amdhsa_reserve_flat_scratch 0
		.amdhsa_float_round_mode_32 0
		.amdhsa_float_round_mode_16_64 0
		.amdhsa_float_denorm_mode_32 3
		.amdhsa_float_denorm_mode_16_64 3
		.amdhsa_dx10_clamp 1
		.amdhsa_ieee_mode 1
		.amdhsa_fp16_overflow 0
		.amdhsa_tg_split 0
		.amdhsa_exception_fp_ieee_invalid_op 0
		.amdhsa_exception_fp_denorm_src 0
		.amdhsa_exception_fp_ieee_div_zero 0
		.amdhsa_exception_fp_ieee_overflow 0
		.amdhsa_exception_fp_ieee_underflow 0
		.amdhsa_exception_fp_ieee_inexact 0
		.amdhsa_exception_int_div_zero 0
	.end_amdhsa_kernel
	.section	.text._ZN7rocprim17ROCPRIM_400000_NS6detail17trampoline_kernelINS0_14default_configENS1_22reduce_config_selectorIfEEZNS1_11reduce_implILb1ES3_PfS7_fN6thrust23THRUST_200600_302600_NS4plusIfEEEE10hipError_tPvRmT1_T2_T3_mT4_P12ihipStream_tbEUlT_E0_NS1_11comp_targetILNS1_3genE10ELNS1_11target_archE1200ELNS1_3gpuE4ELNS1_3repE0EEENS1_30default_config_static_selectorELNS0_4arch9wavefront6targetE1EEEvSF_,"axG",@progbits,_ZN7rocprim17ROCPRIM_400000_NS6detail17trampoline_kernelINS0_14default_configENS1_22reduce_config_selectorIfEEZNS1_11reduce_implILb1ES3_PfS7_fN6thrust23THRUST_200600_302600_NS4plusIfEEEE10hipError_tPvRmT1_T2_T3_mT4_P12ihipStream_tbEUlT_E0_NS1_11comp_targetILNS1_3genE10ELNS1_11target_archE1200ELNS1_3gpuE4ELNS1_3repE0EEENS1_30default_config_static_selectorELNS0_4arch9wavefront6targetE1EEEvSF_,comdat
.Lfunc_end6:
	.size	_ZN7rocprim17ROCPRIM_400000_NS6detail17trampoline_kernelINS0_14default_configENS1_22reduce_config_selectorIfEEZNS1_11reduce_implILb1ES3_PfS7_fN6thrust23THRUST_200600_302600_NS4plusIfEEEE10hipError_tPvRmT1_T2_T3_mT4_P12ihipStream_tbEUlT_E0_NS1_11comp_targetILNS1_3genE10ELNS1_11target_archE1200ELNS1_3gpuE4ELNS1_3repE0EEENS1_30default_config_static_selectorELNS0_4arch9wavefront6targetE1EEEvSF_, .Lfunc_end6-_ZN7rocprim17ROCPRIM_400000_NS6detail17trampoline_kernelINS0_14default_configENS1_22reduce_config_selectorIfEEZNS1_11reduce_implILb1ES3_PfS7_fN6thrust23THRUST_200600_302600_NS4plusIfEEEE10hipError_tPvRmT1_T2_T3_mT4_P12ihipStream_tbEUlT_E0_NS1_11comp_targetILNS1_3genE10ELNS1_11target_archE1200ELNS1_3gpuE4ELNS1_3repE0EEENS1_30default_config_static_selectorELNS0_4arch9wavefront6targetE1EEEvSF_
                                        ; -- End function
	.section	.AMDGPU.csdata,"",@progbits
; Kernel info:
; codeLenInByte = 0
; NumSgprs: 4
; NumVgprs: 0
; NumAgprs: 0
; TotalNumVgprs: 0
; ScratchSize: 0
; MemoryBound: 0
; FloatMode: 240
; IeeeMode: 1
; LDSByteSize: 0 bytes/workgroup (compile time only)
; SGPRBlocks: 0
; VGPRBlocks: 0
; NumSGPRsForWavesPerEU: 4
; NumVGPRsForWavesPerEU: 1
; AccumOffset: 4
; Occupancy: 8
; WaveLimiterHint : 0
; COMPUTE_PGM_RSRC2:SCRATCH_EN: 0
; COMPUTE_PGM_RSRC2:USER_SGPR: 6
; COMPUTE_PGM_RSRC2:TRAP_HANDLER: 0
; COMPUTE_PGM_RSRC2:TGID_X_EN: 1
; COMPUTE_PGM_RSRC2:TGID_Y_EN: 0
; COMPUTE_PGM_RSRC2:TGID_Z_EN: 0
; COMPUTE_PGM_RSRC2:TIDIG_COMP_CNT: 0
; COMPUTE_PGM_RSRC3_GFX90A:ACCUM_OFFSET: 0
; COMPUTE_PGM_RSRC3_GFX90A:TG_SPLIT: 0
	.section	.text._ZN7rocprim17ROCPRIM_400000_NS6detail17trampoline_kernelINS0_14default_configENS1_22reduce_config_selectorIfEEZNS1_11reduce_implILb1ES3_PfS7_fN6thrust23THRUST_200600_302600_NS4plusIfEEEE10hipError_tPvRmT1_T2_T3_mT4_P12ihipStream_tbEUlT_E0_NS1_11comp_targetILNS1_3genE9ELNS1_11target_archE1100ELNS1_3gpuE3ELNS1_3repE0EEENS1_30default_config_static_selectorELNS0_4arch9wavefront6targetE1EEEvSF_,"axG",@progbits,_ZN7rocprim17ROCPRIM_400000_NS6detail17trampoline_kernelINS0_14default_configENS1_22reduce_config_selectorIfEEZNS1_11reduce_implILb1ES3_PfS7_fN6thrust23THRUST_200600_302600_NS4plusIfEEEE10hipError_tPvRmT1_T2_T3_mT4_P12ihipStream_tbEUlT_E0_NS1_11comp_targetILNS1_3genE9ELNS1_11target_archE1100ELNS1_3gpuE3ELNS1_3repE0EEENS1_30default_config_static_selectorELNS0_4arch9wavefront6targetE1EEEvSF_,comdat
	.protected	_ZN7rocprim17ROCPRIM_400000_NS6detail17trampoline_kernelINS0_14default_configENS1_22reduce_config_selectorIfEEZNS1_11reduce_implILb1ES3_PfS7_fN6thrust23THRUST_200600_302600_NS4plusIfEEEE10hipError_tPvRmT1_T2_T3_mT4_P12ihipStream_tbEUlT_E0_NS1_11comp_targetILNS1_3genE9ELNS1_11target_archE1100ELNS1_3gpuE3ELNS1_3repE0EEENS1_30default_config_static_selectorELNS0_4arch9wavefront6targetE1EEEvSF_ ; -- Begin function _ZN7rocprim17ROCPRIM_400000_NS6detail17trampoline_kernelINS0_14default_configENS1_22reduce_config_selectorIfEEZNS1_11reduce_implILb1ES3_PfS7_fN6thrust23THRUST_200600_302600_NS4plusIfEEEE10hipError_tPvRmT1_T2_T3_mT4_P12ihipStream_tbEUlT_E0_NS1_11comp_targetILNS1_3genE9ELNS1_11target_archE1100ELNS1_3gpuE3ELNS1_3repE0EEENS1_30default_config_static_selectorELNS0_4arch9wavefront6targetE1EEEvSF_
	.globl	_ZN7rocprim17ROCPRIM_400000_NS6detail17trampoline_kernelINS0_14default_configENS1_22reduce_config_selectorIfEEZNS1_11reduce_implILb1ES3_PfS7_fN6thrust23THRUST_200600_302600_NS4plusIfEEEE10hipError_tPvRmT1_T2_T3_mT4_P12ihipStream_tbEUlT_E0_NS1_11comp_targetILNS1_3genE9ELNS1_11target_archE1100ELNS1_3gpuE3ELNS1_3repE0EEENS1_30default_config_static_selectorELNS0_4arch9wavefront6targetE1EEEvSF_
	.p2align	8
	.type	_ZN7rocprim17ROCPRIM_400000_NS6detail17trampoline_kernelINS0_14default_configENS1_22reduce_config_selectorIfEEZNS1_11reduce_implILb1ES3_PfS7_fN6thrust23THRUST_200600_302600_NS4plusIfEEEE10hipError_tPvRmT1_T2_T3_mT4_P12ihipStream_tbEUlT_E0_NS1_11comp_targetILNS1_3genE9ELNS1_11target_archE1100ELNS1_3gpuE3ELNS1_3repE0EEENS1_30default_config_static_selectorELNS0_4arch9wavefront6targetE1EEEvSF_,@function
_ZN7rocprim17ROCPRIM_400000_NS6detail17trampoline_kernelINS0_14default_configENS1_22reduce_config_selectorIfEEZNS1_11reduce_implILb1ES3_PfS7_fN6thrust23THRUST_200600_302600_NS4plusIfEEEE10hipError_tPvRmT1_T2_T3_mT4_P12ihipStream_tbEUlT_E0_NS1_11comp_targetILNS1_3genE9ELNS1_11target_archE1100ELNS1_3gpuE3ELNS1_3repE0EEENS1_30default_config_static_selectorELNS0_4arch9wavefront6targetE1EEEvSF_: ; @_ZN7rocprim17ROCPRIM_400000_NS6detail17trampoline_kernelINS0_14default_configENS1_22reduce_config_selectorIfEEZNS1_11reduce_implILb1ES3_PfS7_fN6thrust23THRUST_200600_302600_NS4plusIfEEEE10hipError_tPvRmT1_T2_T3_mT4_P12ihipStream_tbEUlT_E0_NS1_11comp_targetILNS1_3genE9ELNS1_11target_archE1100ELNS1_3gpuE3ELNS1_3repE0EEENS1_30default_config_static_selectorELNS0_4arch9wavefront6targetE1EEEvSF_
; %bb.0:
	.section	.rodata,"a",@progbits
	.p2align	6, 0x0
	.amdhsa_kernel _ZN7rocprim17ROCPRIM_400000_NS6detail17trampoline_kernelINS0_14default_configENS1_22reduce_config_selectorIfEEZNS1_11reduce_implILb1ES3_PfS7_fN6thrust23THRUST_200600_302600_NS4plusIfEEEE10hipError_tPvRmT1_T2_T3_mT4_P12ihipStream_tbEUlT_E0_NS1_11comp_targetILNS1_3genE9ELNS1_11target_archE1100ELNS1_3gpuE3ELNS1_3repE0EEENS1_30default_config_static_selectorELNS0_4arch9wavefront6targetE1EEEvSF_
		.amdhsa_group_segment_fixed_size 0
		.amdhsa_private_segment_fixed_size 0
		.amdhsa_kernarg_size 56
		.amdhsa_user_sgpr_count 6
		.amdhsa_user_sgpr_private_segment_buffer 1
		.amdhsa_user_sgpr_dispatch_ptr 0
		.amdhsa_user_sgpr_queue_ptr 0
		.amdhsa_user_sgpr_kernarg_segment_ptr 1
		.amdhsa_user_sgpr_dispatch_id 0
		.amdhsa_user_sgpr_flat_scratch_init 0
		.amdhsa_user_sgpr_kernarg_preload_length 0
		.amdhsa_user_sgpr_kernarg_preload_offset 0
		.amdhsa_user_sgpr_private_segment_size 0
		.amdhsa_uses_dynamic_stack 0
		.amdhsa_system_sgpr_private_segment_wavefront_offset 0
		.amdhsa_system_sgpr_workgroup_id_x 1
		.amdhsa_system_sgpr_workgroup_id_y 0
		.amdhsa_system_sgpr_workgroup_id_z 0
		.amdhsa_system_sgpr_workgroup_info 0
		.amdhsa_system_vgpr_workitem_id 0
		.amdhsa_next_free_vgpr 1
		.amdhsa_next_free_sgpr 0
		.amdhsa_accum_offset 4
		.amdhsa_reserve_vcc 0
		.amdhsa_reserve_flat_scratch 0
		.amdhsa_float_round_mode_32 0
		.amdhsa_float_round_mode_16_64 0
		.amdhsa_float_denorm_mode_32 3
		.amdhsa_float_denorm_mode_16_64 3
		.amdhsa_dx10_clamp 1
		.amdhsa_ieee_mode 1
		.amdhsa_fp16_overflow 0
		.amdhsa_tg_split 0
		.amdhsa_exception_fp_ieee_invalid_op 0
		.amdhsa_exception_fp_denorm_src 0
		.amdhsa_exception_fp_ieee_div_zero 0
		.amdhsa_exception_fp_ieee_overflow 0
		.amdhsa_exception_fp_ieee_underflow 0
		.amdhsa_exception_fp_ieee_inexact 0
		.amdhsa_exception_int_div_zero 0
	.end_amdhsa_kernel
	.section	.text._ZN7rocprim17ROCPRIM_400000_NS6detail17trampoline_kernelINS0_14default_configENS1_22reduce_config_selectorIfEEZNS1_11reduce_implILb1ES3_PfS7_fN6thrust23THRUST_200600_302600_NS4plusIfEEEE10hipError_tPvRmT1_T2_T3_mT4_P12ihipStream_tbEUlT_E0_NS1_11comp_targetILNS1_3genE9ELNS1_11target_archE1100ELNS1_3gpuE3ELNS1_3repE0EEENS1_30default_config_static_selectorELNS0_4arch9wavefront6targetE1EEEvSF_,"axG",@progbits,_ZN7rocprim17ROCPRIM_400000_NS6detail17trampoline_kernelINS0_14default_configENS1_22reduce_config_selectorIfEEZNS1_11reduce_implILb1ES3_PfS7_fN6thrust23THRUST_200600_302600_NS4plusIfEEEE10hipError_tPvRmT1_T2_T3_mT4_P12ihipStream_tbEUlT_E0_NS1_11comp_targetILNS1_3genE9ELNS1_11target_archE1100ELNS1_3gpuE3ELNS1_3repE0EEENS1_30default_config_static_selectorELNS0_4arch9wavefront6targetE1EEEvSF_,comdat
.Lfunc_end7:
	.size	_ZN7rocprim17ROCPRIM_400000_NS6detail17trampoline_kernelINS0_14default_configENS1_22reduce_config_selectorIfEEZNS1_11reduce_implILb1ES3_PfS7_fN6thrust23THRUST_200600_302600_NS4plusIfEEEE10hipError_tPvRmT1_T2_T3_mT4_P12ihipStream_tbEUlT_E0_NS1_11comp_targetILNS1_3genE9ELNS1_11target_archE1100ELNS1_3gpuE3ELNS1_3repE0EEENS1_30default_config_static_selectorELNS0_4arch9wavefront6targetE1EEEvSF_, .Lfunc_end7-_ZN7rocprim17ROCPRIM_400000_NS6detail17trampoline_kernelINS0_14default_configENS1_22reduce_config_selectorIfEEZNS1_11reduce_implILb1ES3_PfS7_fN6thrust23THRUST_200600_302600_NS4plusIfEEEE10hipError_tPvRmT1_T2_T3_mT4_P12ihipStream_tbEUlT_E0_NS1_11comp_targetILNS1_3genE9ELNS1_11target_archE1100ELNS1_3gpuE3ELNS1_3repE0EEENS1_30default_config_static_selectorELNS0_4arch9wavefront6targetE1EEEvSF_
                                        ; -- End function
	.section	.AMDGPU.csdata,"",@progbits
; Kernel info:
; codeLenInByte = 0
; NumSgprs: 4
; NumVgprs: 0
; NumAgprs: 0
; TotalNumVgprs: 0
; ScratchSize: 0
; MemoryBound: 0
; FloatMode: 240
; IeeeMode: 1
; LDSByteSize: 0 bytes/workgroup (compile time only)
; SGPRBlocks: 0
; VGPRBlocks: 0
; NumSGPRsForWavesPerEU: 4
; NumVGPRsForWavesPerEU: 1
; AccumOffset: 4
; Occupancy: 8
; WaveLimiterHint : 0
; COMPUTE_PGM_RSRC2:SCRATCH_EN: 0
; COMPUTE_PGM_RSRC2:USER_SGPR: 6
; COMPUTE_PGM_RSRC2:TRAP_HANDLER: 0
; COMPUTE_PGM_RSRC2:TGID_X_EN: 1
; COMPUTE_PGM_RSRC2:TGID_Y_EN: 0
; COMPUTE_PGM_RSRC2:TGID_Z_EN: 0
; COMPUTE_PGM_RSRC2:TIDIG_COMP_CNT: 0
; COMPUTE_PGM_RSRC3_GFX90A:ACCUM_OFFSET: 0
; COMPUTE_PGM_RSRC3_GFX90A:TG_SPLIT: 0
	.section	.text._ZN7rocprim17ROCPRIM_400000_NS6detail17trampoline_kernelINS0_14default_configENS1_22reduce_config_selectorIfEEZNS1_11reduce_implILb1ES3_PfS7_fN6thrust23THRUST_200600_302600_NS4plusIfEEEE10hipError_tPvRmT1_T2_T3_mT4_P12ihipStream_tbEUlT_E0_NS1_11comp_targetILNS1_3genE8ELNS1_11target_archE1030ELNS1_3gpuE2ELNS1_3repE0EEENS1_30default_config_static_selectorELNS0_4arch9wavefront6targetE1EEEvSF_,"axG",@progbits,_ZN7rocprim17ROCPRIM_400000_NS6detail17trampoline_kernelINS0_14default_configENS1_22reduce_config_selectorIfEEZNS1_11reduce_implILb1ES3_PfS7_fN6thrust23THRUST_200600_302600_NS4plusIfEEEE10hipError_tPvRmT1_T2_T3_mT4_P12ihipStream_tbEUlT_E0_NS1_11comp_targetILNS1_3genE8ELNS1_11target_archE1030ELNS1_3gpuE2ELNS1_3repE0EEENS1_30default_config_static_selectorELNS0_4arch9wavefront6targetE1EEEvSF_,comdat
	.protected	_ZN7rocprim17ROCPRIM_400000_NS6detail17trampoline_kernelINS0_14default_configENS1_22reduce_config_selectorIfEEZNS1_11reduce_implILb1ES3_PfS7_fN6thrust23THRUST_200600_302600_NS4plusIfEEEE10hipError_tPvRmT1_T2_T3_mT4_P12ihipStream_tbEUlT_E0_NS1_11comp_targetILNS1_3genE8ELNS1_11target_archE1030ELNS1_3gpuE2ELNS1_3repE0EEENS1_30default_config_static_selectorELNS0_4arch9wavefront6targetE1EEEvSF_ ; -- Begin function _ZN7rocprim17ROCPRIM_400000_NS6detail17trampoline_kernelINS0_14default_configENS1_22reduce_config_selectorIfEEZNS1_11reduce_implILb1ES3_PfS7_fN6thrust23THRUST_200600_302600_NS4plusIfEEEE10hipError_tPvRmT1_T2_T3_mT4_P12ihipStream_tbEUlT_E0_NS1_11comp_targetILNS1_3genE8ELNS1_11target_archE1030ELNS1_3gpuE2ELNS1_3repE0EEENS1_30default_config_static_selectorELNS0_4arch9wavefront6targetE1EEEvSF_
	.globl	_ZN7rocprim17ROCPRIM_400000_NS6detail17trampoline_kernelINS0_14default_configENS1_22reduce_config_selectorIfEEZNS1_11reduce_implILb1ES3_PfS7_fN6thrust23THRUST_200600_302600_NS4plusIfEEEE10hipError_tPvRmT1_T2_T3_mT4_P12ihipStream_tbEUlT_E0_NS1_11comp_targetILNS1_3genE8ELNS1_11target_archE1030ELNS1_3gpuE2ELNS1_3repE0EEENS1_30default_config_static_selectorELNS0_4arch9wavefront6targetE1EEEvSF_
	.p2align	8
	.type	_ZN7rocprim17ROCPRIM_400000_NS6detail17trampoline_kernelINS0_14default_configENS1_22reduce_config_selectorIfEEZNS1_11reduce_implILb1ES3_PfS7_fN6thrust23THRUST_200600_302600_NS4plusIfEEEE10hipError_tPvRmT1_T2_T3_mT4_P12ihipStream_tbEUlT_E0_NS1_11comp_targetILNS1_3genE8ELNS1_11target_archE1030ELNS1_3gpuE2ELNS1_3repE0EEENS1_30default_config_static_selectorELNS0_4arch9wavefront6targetE1EEEvSF_,@function
_ZN7rocprim17ROCPRIM_400000_NS6detail17trampoline_kernelINS0_14default_configENS1_22reduce_config_selectorIfEEZNS1_11reduce_implILb1ES3_PfS7_fN6thrust23THRUST_200600_302600_NS4plusIfEEEE10hipError_tPvRmT1_T2_T3_mT4_P12ihipStream_tbEUlT_E0_NS1_11comp_targetILNS1_3genE8ELNS1_11target_archE1030ELNS1_3gpuE2ELNS1_3repE0EEENS1_30default_config_static_selectorELNS0_4arch9wavefront6targetE1EEEvSF_: ; @_ZN7rocprim17ROCPRIM_400000_NS6detail17trampoline_kernelINS0_14default_configENS1_22reduce_config_selectorIfEEZNS1_11reduce_implILb1ES3_PfS7_fN6thrust23THRUST_200600_302600_NS4plusIfEEEE10hipError_tPvRmT1_T2_T3_mT4_P12ihipStream_tbEUlT_E0_NS1_11comp_targetILNS1_3genE8ELNS1_11target_archE1030ELNS1_3gpuE2ELNS1_3repE0EEENS1_30default_config_static_selectorELNS0_4arch9wavefront6targetE1EEEvSF_
; %bb.0:
	.section	.rodata,"a",@progbits
	.p2align	6, 0x0
	.amdhsa_kernel _ZN7rocprim17ROCPRIM_400000_NS6detail17trampoline_kernelINS0_14default_configENS1_22reduce_config_selectorIfEEZNS1_11reduce_implILb1ES3_PfS7_fN6thrust23THRUST_200600_302600_NS4plusIfEEEE10hipError_tPvRmT1_T2_T3_mT4_P12ihipStream_tbEUlT_E0_NS1_11comp_targetILNS1_3genE8ELNS1_11target_archE1030ELNS1_3gpuE2ELNS1_3repE0EEENS1_30default_config_static_selectorELNS0_4arch9wavefront6targetE1EEEvSF_
		.amdhsa_group_segment_fixed_size 0
		.amdhsa_private_segment_fixed_size 0
		.amdhsa_kernarg_size 56
		.amdhsa_user_sgpr_count 6
		.amdhsa_user_sgpr_private_segment_buffer 1
		.amdhsa_user_sgpr_dispatch_ptr 0
		.amdhsa_user_sgpr_queue_ptr 0
		.amdhsa_user_sgpr_kernarg_segment_ptr 1
		.amdhsa_user_sgpr_dispatch_id 0
		.amdhsa_user_sgpr_flat_scratch_init 0
		.amdhsa_user_sgpr_kernarg_preload_length 0
		.amdhsa_user_sgpr_kernarg_preload_offset 0
		.amdhsa_user_sgpr_private_segment_size 0
		.amdhsa_uses_dynamic_stack 0
		.amdhsa_system_sgpr_private_segment_wavefront_offset 0
		.amdhsa_system_sgpr_workgroup_id_x 1
		.amdhsa_system_sgpr_workgroup_id_y 0
		.amdhsa_system_sgpr_workgroup_id_z 0
		.amdhsa_system_sgpr_workgroup_info 0
		.amdhsa_system_vgpr_workitem_id 0
		.amdhsa_next_free_vgpr 1
		.amdhsa_next_free_sgpr 0
		.amdhsa_accum_offset 4
		.amdhsa_reserve_vcc 0
		.amdhsa_reserve_flat_scratch 0
		.amdhsa_float_round_mode_32 0
		.amdhsa_float_round_mode_16_64 0
		.amdhsa_float_denorm_mode_32 3
		.amdhsa_float_denorm_mode_16_64 3
		.amdhsa_dx10_clamp 1
		.amdhsa_ieee_mode 1
		.amdhsa_fp16_overflow 0
		.amdhsa_tg_split 0
		.amdhsa_exception_fp_ieee_invalid_op 0
		.amdhsa_exception_fp_denorm_src 0
		.amdhsa_exception_fp_ieee_div_zero 0
		.amdhsa_exception_fp_ieee_overflow 0
		.amdhsa_exception_fp_ieee_underflow 0
		.amdhsa_exception_fp_ieee_inexact 0
		.amdhsa_exception_int_div_zero 0
	.end_amdhsa_kernel
	.section	.text._ZN7rocprim17ROCPRIM_400000_NS6detail17trampoline_kernelINS0_14default_configENS1_22reduce_config_selectorIfEEZNS1_11reduce_implILb1ES3_PfS7_fN6thrust23THRUST_200600_302600_NS4plusIfEEEE10hipError_tPvRmT1_T2_T3_mT4_P12ihipStream_tbEUlT_E0_NS1_11comp_targetILNS1_3genE8ELNS1_11target_archE1030ELNS1_3gpuE2ELNS1_3repE0EEENS1_30default_config_static_selectorELNS0_4arch9wavefront6targetE1EEEvSF_,"axG",@progbits,_ZN7rocprim17ROCPRIM_400000_NS6detail17trampoline_kernelINS0_14default_configENS1_22reduce_config_selectorIfEEZNS1_11reduce_implILb1ES3_PfS7_fN6thrust23THRUST_200600_302600_NS4plusIfEEEE10hipError_tPvRmT1_T2_T3_mT4_P12ihipStream_tbEUlT_E0_NS1_11comp_targetILNS1_3genE8ELNS1_11target_archE1030ELNS1_3gpuE2ELNS1_3repE0EEENS1_30default_config_static_selectorELNS0_4arch9wavefront6targetE1EEEvSF_,comdat
.Lfunc_end8:
	.size	_ZN7rocprim17ROCPRIM_400000_NS6detail17trampoline_kernelINS0_14default_configENS1_22reduce_config_selectorIfEEZNS1_11reduce_implILb1ES3_PfS7_fN6thrust23THRUST_200600_302600_NS4plusIfEEEE10hipError_tPvRmT1_T2_T3_mT4_P12ihipStream_tbEUlT_E0_NS1_11comp_targetILNS1_3genE8ELNS1_11target_archE1030ELNS1_3gpuE2ELNS1_3repE0EEENS1_30default_config_static_selectorELNS0_4arch9wavefront6targetE1EEEvSF_, .Lfunc_end8-_ZN7rocprim17ROCPRIM_400000_NS6detail17trampoline_kernelINS0_14default_configENS1_22reduce_config_selectorIfEEZNS1_11reduce_implILb1ES3_PfS7_fN6thrust23THRUST_200600_302600_NS4plusIfEEEE10hipError_tPvRmT1_T2_T3_mT4_P12ihipStream_tbEUlT_E0_NS1_11comp_targetILNS1_3genE8ELNS1_11target_archE1030ELNS1_3gpuE2ELNS1_3repE0EEENS1_30default_config_static_selectorELNS0_4arch9wavefront6targetE1EEEvSF_
                                        ; -- End function
	.section	.AMDGPU.csdata,"",@progbits
; Kernel info:
; codeLenInByte = 0
; NumSgprs: 4
; NumVgprs: 0
; NumAgprs: 0
; TotalNumVgprs: 0
; ScratchSize: 0
; MemoryBound: 0
; FloatMode: 240
; IeeeMode: 1
; LDSByteSize: 0 bytes/workgroup (compile time only)
; SGPRBlocks: 0
; VGPRBlocks: 0
; NumSGPRsForWavesPerEU: 4
; NumVGPRsForWavesPerEU: 1
; AccumOffset: 4
; Occupancy: 8
; WaveLimiterHint : 0
; COMPUTE_PGM_RSRC2:SCRATCH_EN: 0
; COMPUTE_PGM_RSRC2:USER_SGPR: 6
; COMPUTE_PGM_RSRC2:TRAP_HANDLER: 0
; COMPUTE_PGM_RSRC2:TGID_X_EN: 1
; COMPUTE_PGM_RSRC2:TGID_Y_EN: 0
; COMPUTE_PGM_RSRC2:TGID_Z_EN: 0
; COMPUTE_PGM_RSRC2:TIDIG_COMP_CNT: 0
; COMPUTE_PGM_RSRC3_GFX90A:ACCUM_OFFSET: 0
; COMPUTE_PGM_RSRC3_GFX90A:TG_SPLIT: 0
	.section	.text._ZN7rocprim17ROCPRIM_400000_NS6detail17trampoline_kernelINS0_14default_configENS1_22reduce_config_selectorIfEEZNS1_11reduce_implILb1ES3_PfS7_fN6thrust23THRUST_200600_302600_NS4plusIfEEEE10hipError_tPvRmT1_T2_T3_mT4_P12ihipStream_tbEUlT_E1_NS1_11comp_targetILNS1_3genE0ELNS1_11target_archE4294967295ELNS1_3gpuE0ELNS1_3repE0EEENS1_30default_config_static_selectorELNS0_4arch9wavefront6targetE1EEEvSF_,"axG",@progbits,_ZN7rocprim17ROCPRIM_400000_NS6detail17trampoline_kernelINS0_14default_configENS1_22reduce_config_selectorIfEEZNS1_11reduce_implILb1ES3_PfS7_fN6thrust23THRUST_200600_302600_NS4plusIfEEEE10hipError_tPvRmT1_T2_T3_mT4_P12ihipStream_tbEUlT_E1_NS1_11comp_targetILNS1_3genE0ELNS1_11target_archE4294967295ELNS1_3gpuE0ELNS1_3repE0EEENS1_30default_config_static_selectorELNS0_4arch9wavefront6targetE1EEEvSF_,comdat
	.protected	_ZN7rocprim17ROCPRIM_400000_NS6detail17trampoline_kernelINS0_14default_configENS1_22reduce_config_selectorIfEEZNS1_11reduce_implILb1ES3_PfS7_fN6thrust23THRUST_200600_302600_NS4plusIfEEEE10hipError_tPvRmT1_T2_T3_mT4_P12ihipStream_tbEUlT_E1_NS1_11comp_targetILNS1_3genE0ELNS1_11target_archE4294967295ELNS1_3gpuE0ELNS1_3repE0EEENS1_30default_config_static_selectorELNS0_4arch9wavefront6targetE1EEEvSF_ ; -- Begin function _ZN7rocprim17ROCPRIM_400000_NS6detail17trampoline_kernelINS0_14default_configENS1_22reduce_config_selectorIfEEZNS1_11reduce_implILb1ES3_PfS7_fN6thrust23THRUST_200600_302600_NS4plusIfEEEE10hipError_tPvRmT1_T2_T3_mT4_P12ihipStream_tbEUlT_E1_NS1_11comp_targetILNS1_3genE0ELNS1_11target_archE4294967295ELNS1_3gpuE0ELNS1_3repE0EEENS1_30default_config_static_selectorELNS0_4arch9wavefront6targetE1EEEvSF_
	.globl	_ZN7rocprim17ROCPRIM_400000_NS6detail17trampoline_kernelINS0_14default_configENS1_22reduce_config_selectorIfEEZNS1_11reduce_implILb1ES3_PfS7_fN6thrust23THRUST_200600_302600_NS4plusIfEEEE10hipError_tPvRmT1_T2_T3_mT4_P12ihipStream_tbEUlT_E1_NS1_11comp_targetILNS1_3genE0ELNS1_11target_archE4294967295ELNS1_3gpuE0ELNS1_3repE0EEENS1_30default_config_static_selectorELNS0_4arch9wavefront6targetE1EEEvSF_
	.p2align	8
	.type	_ZN7rocprim17ROCPRIM_400000_NS6detail17trampoline_kernelINS0_14default_configENS1_22reduce_config_selectorIfEEZNS1_11reduce_implILb1ES3_PfS7_fN6thrust23THRUST_200600_302600_NS4plusIfEEEE10hipError_tPvRmT1_T2_T3_mT4_P12ihipStream_tbEUlT_E1_NS1_11comp_targetILNS1_3genE0ELNS1_11target_archE4294967295ELNS1_3gpuE0ELNS1_3repE0EEENS1_30default_config_static_selectorELNS0_4arch9wavefront6targetE1EEEvSF_,@function
_ZN7rocprim17ROCPRIM_400000_NS6detail17trampoline_kernelINS0_14default_configENS1_22reduce_config_selectorIfEEZNS1_11reduce_implILb1ES3_PfS7_fN6thrust23THRUST_200600_302600_NS4plusIfEEEE10hipError_tPvRmT1_T2_T3_mT4_P12ihipStream_tbEUlT_E1_NS1_11comp_targetILNS1_3genE0ELNS1_11target_archE4294967295ELNS1_3gpuE0ELNS1_3repE0EEENS1_30default_config_static_selectorELNS0_4arch9wavefront6targetE1EEEvSF_: ; @_ZN7rocprim17ROCPRIM_400000_NS6detail17trampoline_kernelINS0_14default_configENS1_22reduce_config_selectorIfEEZNS1_11reduce_implILb1ES3_PfS7_fN6thrust23THRUST_200600_302600_NS4plusIfEEEE10hipError_tPvRmT1_T2_T3_mT4_P12ihipStream_tbEUlT_E1_NS1_11comp_targetILNS1_3genE0ELNS1_11target_archE4294967295ELNS1_3gpuE0ELNS1_3repE0EEENS1_30default_config_static_selectorELNS0_4arch9wavefront6targetE1EEEvSF_
; %bb.0:
	.section	.rodata,"a",@progbits
	.p2align	6, 0x0
	.amdhsa_kernel _ZN7rocprim17ROCPRIM_400000_NS6detail17trampoline_kernelINS0_14default_configENS1_22reduce_config_selectorIfEEZNS1_11reduce_implILb1ES3_PfS7_fN6thrust23THRUST_200600_302600_NS4plusIfEEEE10hipError_tPvRmT1_T2_T3_mT4_P12ihipStream_tbEUlT_E1_NS1_11comp_targetILNS1_3genE0ELNS1_11target_archE4294967295ELNS1_3gpuE0ELNS1_3repE0EEENS1_30default_config_static_selectorELNS0_4arch9wavefront6targetE1EEEvSF_
		.amdhsa_group_segment_fixed_size 0
		.amdhsa_private_segment_fixed_size 0
		.amdhsa_kernarg_size 40
		.amdhsa_user_sgpr_count 6
		.amdhsa_user_sgpr_private_segment_buffer 1
		.amdhsa_user_sgpr_dispatch_ptr 0
		.amdhsa_user_sgpr_queue_ptr 0
		.amdhsa_user_sgpr_kernarg_segment_ptr 1
		.amdhsa_user_sgpr_dispatch_id 0
		.amdhsa_user_sgpr_flat_scratch_init 0
		.amdhsa_user_sgpr_kernarg_preload_length 0
		.amdhsa_user_sgpr_kernarg_preload_offset 0
		.amdhsa_user_sgpr_private_segment_size 0
		.amdhsa_uses_dynamic_stack 0
		.amdhsa_system_sgpr_private_segment_wavefront_offset 0
		.amdhsa_system_sgpr_workgroup_id_x 1
		.amdhsa_system_sgpr_workgroup_id_y 0
		.amdhsa_system_sgpr_workgroup_id_z 0
		.amdhsa_system_sgpr_workgroup_info 0
		.amdhsa_system_vgpr_workitem_id 0
		.amdhsa_next_free_vgpr 1
		.amdhsa_next_free_sgpr 0
		.amdhsa_accum_offset 4
		.amdhsa_reserve_vcc 0
		.amdhsa_reserve_flat_scratch 0
		.amdhsa_float_round_mode_32 0
		.amdhsa_float_round_mode_16_64 0
		.amdhsa_float_denorm_mode_32 3
		.amdhsa_float_denorm_mode_16_64 3
		.amdhsa_dx10_clamp 1
		.amdhsa_ieee_mode 1
		.amdhsa_fp16_overflow 0
		.amdhsa_tg_split 0
		.amdhsa_exception_fp_ieee_invalid_op 0
		.amdhsa_exception_fp_denorm_src 0
		.amdhsa_exception_fp_ieee_div_zero 0
		.amdhsa_exception_fp_ieee_overflow 0
		.amdhsa_exception_fp_ieee_underflow 0
		.amdhsa_exception_fp_ieee_inexact 0
		.amdhsa_exception_int_div_zero 0
	.end_amdhsa_kernel
	.section	.text._ZN7rocprim17ROCPRIM_400000_NS6detail17trampoline_kernelINS0_14default_configENS1_22reduce_config_selectorIfEEZNS1_11reduce_implILb1ES3_PfS7_fN6thrust23THRUST_200600_302600_NS4plusIfEEEE10hipError_tPvRmT1_T2_T3_mT4_P12ihipStream_tbEUlT_E1_NS1_11comp_targetILNS1_3genE0ELNS1_11target_archE4294967295ELNS1_3gpuE0ELNS1_3repE0EEENS1_30default_config_static_selectorELNS0_4arch9wavefront6targetE1EEEvSF_,"axG",@progbits,_ZN7rocprim17ROCPRIM_400000_NS6detail17trampoline_kernelINS0_14default_configENS1_22reduce_config_selectorIfEEZNS1_11reduce_implILb1ES3_PfS7_fN6thrust23THRUST_200600_302600_NS4plusIfEEEE10hipError_tPvRmT1_T2_T3_mT4_P12ihipStream_tbEUlT_E1_NS1_11comp_targetILNS1_3genE0ELNS1_11target_archE4294967295ELNS1_3gpuE0ELNS1_3repE0EEENS1_30default_config_static_selectorELNS0_4arch9wavefront6targetE1EEEvSF_,comdat
.Lfunc_end9:
	.size	_ZN7rocprim17ROCPRIM_400000_NS6detail17trampoline_kernelINS0_14default_configENS1_22reduce_config_selectorIfEEZNS1_11reduce_implILb1ES3_PfS7_fN6thrust23THRUST_200600_302600_NS4plusIfEEEE10hipError_tPvRmT1_T2_T3_mT4_P12ihipStream_tbEUlT_E1_NS1_11comp_targetILNS1_3genE0ELNS1_11target_archE4294967295ELNS1_3gpuE0ELNS1_3repE0EEENS1_30default_config_static_selectorELNS0_4arch9wavefront6targetE1EEEvSF_, .Lfunc_end9-_ZN7rocprim17ROCPRIM_400000_NS6detail17trampoline_kernelINS0_14default_configENS1_22reduce_config_selectorIfEEZNS1_11reduce_implILb1ES3_PfS7_fN6thrust23THRUST_200600_302600_NS4plusIfEEEE10hipError_tPvRmT1_T2_T3_mT4_P12ihipStream_tbEUlT_E1_NS1_11comp_targetILNS1_3genE0ELNS1_11target_archE4294967295ELNS1_3gpuE0ELNS1_3repE0EEENS1_30default_config_static_selectorELNS0_4arch9wavefront6targetE1EEEvSF_
                                        ; -- End function
	.section	.AMDGPU.csdata,"",@progbits
; Kernel info:
; codeLenInByte = 0
; NumSgprs: 4
; NumVgprs: 0
; NumAgprs: 0
; TotalNumVgprs: 0
; ScratchSize: 0
; MemoryBound: 0
; FloatMode: 240
; IeeeMode: 1
; LDSByteSize: 0 bytes/workgroup (compile time only)
; SGPRBlocks: 0
; VGPRBlocks: 0
; NumSGPRsForWavesPerEU: 4
; NumVGPRsForWavesPerEU: 1
; AccumOffset: 4
; Occupancy: 8
; WaveLimiterHint : 0
; COMPUTE_PGM_RSRC2:SCRATCH_EN: 0
; COMPUTE_PGM_RSRC2:USER_SGPR: 6
; COMPUTE_PGM_RSRC2:TRAP_HANDLER: 0
; COMPUTE_PGM_RSRC2:TGID_X_EN: 1
; COMPUTE_PGM_RSRC2:TGID_Y_EN: 0
; COMPUTE_PGM_RSRC2:TGID_Z_EN: 0
; COMPUTE_PGM_RSRC2:TIDIG_COMP_CNT: 0
; COMPUTE_PGM_RSRC3_GFX90A:ACCUM_OFFSET: 0
; COMPUTE_PGM_RSRC3_GFX90A:TG_SPLIT: 0
	.section	.text._ZN7rocprim17ROCPRIM_400000_NS6detail17trampoline_kernelINS0_14default_configENS1_22reduce_config_selectorIfEEZNS1_11reduce_implILb1ES3_PfS7_fN6thrust23THRUST_200600_302600_NS4plusIfEEEE10hipError_tPvRmT1_T2_T3_mT4_P12ihipStream_tbEUlT_E1_NS1_11comp_targetILNS1_3genE5ELNS1_11target_archE942ELNS1_3gpuE9ELNS1_3repE0EEENS1_30default_config_static_selectorELNS0_4arch9wavefront6targetE1EEEvSF_,"axG",@progbits,_ZN7rocprim17ROCPRIM_400000_NS6detail17trampoline_kernelINS0_14default_configENS1_22reduce_config_selectorIfEEZNS1_11reduce_implILb1ES3_PfS7_fN6thrust23THRUST_200600_302600_NS4plusIfEEEE10hipError_tPvRmT1_T2_T3_mT4_P12ihipStream_tbEUlT_E1_NS1_11comp_targetILNS1_3genE5ELNS1_11target_archE942ELNS1_3gpuE9ELNS1_3repE0EEENS1_30default_config_static_selectorELNS0_4arch9wavefront6targetE1EEEvSF_,comdat
	.protected	_ZN7rocprim17ROCPRIM_400000_NS6detail17trampoline_kernelINS0_14default_configENS1_22reduce_config_selectorIfEEZNS1_11reduce_implILb1ES3_PfS7_fN6thrust23THRUST_200600_302600_NS4plusIfEEEE10hipError_tPvRmT1_T2_T3_mT4_P12ihipStream_tbEUlT_E1_NS1_11comp_targetILNS1_3genE5ELNS1_11target_archE942ELNS1_3gpuE9ELNS1_3repE0EEENS1_30default_config_static_selectorELNS0_4arch9wavefront6targetE1EEEvSF_ ; -- Begin function _ZN7rocprim17ROCPRIM_400000_NS6detail17trampoline_kernelINS0_14default_configENS1_22reduce_config_selectorIfEEZNS1_11reduce_implILb1ES3_PfS7_fN6thrust23THRUST_200600_302600_NS4plusIfEEEE10hipError_tPvRmT1_T2_T3_mT4_P12ihipStream_tbEUlT_E1_NS1_11comp_targetILNS1_3genE5ELNS1_11target_archE942ELNS1_3gpuE9ELNS1_3repE0EEENS1_30default_config_static_selectorELNS0_4arch9wavefront6targetE1EEEvSF_
	.globl	_ZN7rocprim17ROCPRIM_400000_NS6detail17trampoline_kernelINS0_14default_configENS1_22reduce_config_selectorIfEEZNS1_11reduce_implILb1ES3_PfS7_fN6thrust23THRUST_200600_302600_NS4plusIfEEEE10hipError_tPvRmT1_T2_T3_mT4_P12ihipStream_tbEUlT_E1_NS1_11comp_targetILNS1_3genE5ELNS1_11target_archE942ELNS1_3gpuE9ELNS1_3repE0EEENS1_30default_config_static_selectorELNS0_4arch9wavefront6targetE1EEEvSF_
	.p2align	8
	.type	_ZN7rocprim17ROCPRIM_400000_NS6detail17trampoline_kernelINS0_14default_configENS1_22reduce_config_selectorIfEEZNS1_11reduce_implILb1ES3_PfS7_fN6thrust23THRUST_200600_302600_NS4plusIfEEEE10hipError_tPvRmT1_T2_T3_mT4_P12ihipStream_tbEUlT_E1_NS1_11comp_targetILNS1_3genE5ELNS1_11target_archE942ELNS1_3gpuE9ELNS1_3repE0EEENS1_30default_config_static_selectorELNS0_4arch9wavefront6targetE1EEEvSF_,@function
_ZN7rocprim17ROCPRIM_400000_NS6detail17trampoline_kernelINS0_14default_configENS1_22reduce_config_selectorIfEEZNS1_11reduce_implILb1ES3_PfS7_fN6thrust23THRUST_200600_302600_NS4plusIfEEEE10hipError_tPvRmT1_T2_T3_mT4_P12ihipStream_tbEUlT_E1_NS1_11comp_targetILNS1_3genE5ELNS1_11target_archE942ELNS1_3gpuE9ELNS1_3repE0EEENS1_30default_config_static_selectorELNS0_4arch9wavefront6targetE1EEEvSF_: ; @_ZN7rocprim17ROCPRIM_400000_NS6detail17trampoline_kernelINS0_14default_configENS1_22reduce_config_selectorIfEEZNS1_11reduce_implILb1ES3_PfS7_fN6thrust23THRUST_200600_302600_NS4plusIfEEEE10hipError_tPvRmT1_T2_T3_mT4_P12ihipStream_tbEUlT_E1_NS1_11comp_targetILNS1_3genE5ELNS1_11target_archE942ELNS1_3gpuE9ELNS1_3repE0EEENS1_30default_config_static_selectorELNS0_4arch9wavefront6targetE1EEEvSF_
; %bb.0:
	.section	.rodata,"a",@progbits
	.p2align	6, 0x0
	.amdhsa_kernel _ZN7rocprim17ROCPRIM_400000_NS6detail17trampoline_kernelINS0_14default_configENS1_22reduce_config_selectorIfEEZNS1_11reduce_implILb1ES3_PfS7_fN6thrust23THRUST_200600_302600_NS4plusIfEEEE10hipError_tPvRmT1_T2_T3_mT4_P12ihipStream_tbEUlT_E1_NS1_11comp_targetILNS1_3genE5ELNS1_11target_archE942ELNS1_3gpuE9ELNS1_3repE0EEENS1_30default_config_static_selectorELNS0_4arch9wavefront6targetE1EEEvSF_
		.amdhsa_group_segment_fixed_size 0
		.amdhsa_private_segment_fixed_size 0
		.amdhsa_kernarg_size 40
		.amdhsa_user_sgpr_count 6
		.amdhsa_user_sgpr_private_segment_buffer 1
		.amdhsa_user_sgpr_dispatch_ptr 0
		.amdhsa_user_sgpr_queue_ptr 0
		.amdhsa_user_sgpr_kernarg_segment_ptr 1
		.amdhsa_user_sgpr_dispatch_id 0
		.amdhsa_user_sgpr_flat_scratch_init 0
		.amdhsa_user_sgpr_kernarg_preload_length 0
		.amdhsa_user_sgpr_kernarg_preload_offset 0
		.amdhsa_user_sgpr_private_segment_size 0
		.amdhsa_uses_dynamic_stack 0
		.amdhsa_system_sgpr_private_segment_wavefront_offset 0
		.amdhsa_system_sgpr_workgroup_id_x 1
		.amdhsa_system_sgpr_workgroup_id_y 0
		.amdhsa_system_sgpr_workgroup_id_z 0
		.amdhsa_system_sgpr_workgroup_info 0
		.amdhsa_system_vgpr_workitem_id 0
		.amdhsa_next_free_vgpr 1
		.amdhsa_next_free_sgpr 0
		.amdhsa_accum_offset 4
		.amdhsa_reserve_vcc 0
		.amdhsa_reserve_flat_scratch 0
		.amdhsa_float_round_mode_32 0
		.amdhsa_float_round_mode_16_64 0
		.amdhsa_float_denorm_mode_32 3
		.amdhsa_float_denorm_mode_16_64 3
		.amdhsa_dx10_clamp 1
		.amdhsa_ieee_mode 1
		.amdhsa_fp16_overflow 0
		.amdhsa_tg_split 0
		.amdhsa_exception_fp_ieee_invalid_op 0
		.amdhsa_exception_fp_denorm_src 0
		.amdhsa_exception_fp_ieee_div_zero 0
		.amdhsa_exception_fp_ieee_overflow 0
		.amdhsa_exception_fp_ieee_underflow 0
		.amdhsa_exception_fp_ieee_inexact 0
		.amdhsa_exception_int_div_zero 0
	.end_amdhsa_kernel
	.section	.text._ZN7rocprim17ROCPRIM_400000_NS6detail17trampoline_kernelINS0_14default_configENS1_22reduce_config_selectorIfEEZNS1_11reduce_implILb1ES3_PfS7_fN6thrust23THRUST_200600_302600_NS4plusIfEEEE10hipError_tPvRmT1_T2_T3_mT4_P12ihipStream_tbEUlT_E1_NS1_11comp_targetILNS1_3genE5ELNS1_11target_archE942ELNS1_3gpuE9ELNS1_3repE0EEENS1_30default_config_static_selectorELNS0_4arch9wavefront6targetE1EEEvSF_,"axG",@progbits,_ZN7rocprim17ROCPRIM_400000_NS6detail17trampoline_kernelINS0_14default_configENS1_22reduce_config_selectorIfEEZNS1_11reduce_implILb1ES3_PfS7_fN6thrust23THRUST_200600_302600_NS4plusIfEEEE10hipError_tPvRmT1_T2_T3_mT4_P12ihipStream_tbEUlT_E1_NS1_11comp_targetILNS1_3genE5ELNS1_11target_archE942ELNS1_3gpuE9ELNS1_3repE0EEENS1_30default_config_static_selectorELNS0_4arch9wavefront6targetE1EEEvSF_,comdat
.Lfunc_end10:
	.size	_ZN7rocprim17ROCPRIM_400000_NS6detail17trampoline_kernelINS0_14default_configENS1_22reduce_config_selectorIfEEZNS1_11reduce_implILb1ES3_PfS7_fN6thrust23THRUST_200600_302600_NS4plusIfEEEE10hipError_tPvRmT1_T2_T3_mT4_P12ihipStream_tbEUlT_E1_NS1_11comp_targetILNS1_3genE5ELNS1_11target_archE942ELNS1_3gpuE9ELNS1_3repE0EEENS1_30default_config_static_selectorELNS0_4arch9wavefront6targetE1EEEvSF_, .Lfunc_end10-_ZN7rocprim17ROCPRIM_400000_NS6detail17trampoline_kernelINS0_14default_configENS1_22reduce_config_selectorIfEEZNS1_11reduce_implILb1ES3_PfS7_fN6thrust23THRUST_200600_302600_NS4plusIfEEEE10hipError_tPvRmT1_T2_T3_mT4_P12ihipStream_tbEUlT_E1_NS1_11comp_targetILNS1_3genE5ELNS1_11target_archE942ELNS1_3gpuE9ELNS1_3repE0EEENS1_30default_config_static_selectorELNS0_4arch9wavefront6targetE1EEEvSF_
                                        ; -- End function
	.section	.AMDGPU.csdata,"",@progbits
; Kernel info:
; codeLenInByte = 0
; NumSgprs: 4
; NumVgprs: 0
; NumAgprs: 0
; TotalNumVgprs: 0
; ScratchSize: 0
; MemoryBound: 0
; FloatMode: 240
; IeeeMode: 1
; LDSByteSize: 0 bytes/workgroup (compile time only)
; SGPRBlocks: 0
; VGPRBlocks: 0
; NumSGPRsForWavesPerEU: 4
; NumVGPRsForWavesPerEU: 1
; AccumOffset: 4
; Occupancy: 8
; WaveLimiterHint : 0
; COMPUTE_PGM_RSRC2:SCRATCH_EN: 0
; COMPUTE_PGM_RSRC2:USER_SGPR: 6
; COMPUTE_PGM_RSRC2:TRAP_HANDLER: 0
; COMPUTE_PGM_RSRC2:TGID_X_EN: 1
; COMPUTE_PGM_RSRC2:TGID_Y_EN: 0
; COMPUTE_PGM_RSRC2:TGID_Z_EN: 0
; COMPUTE_PGM_RSRC2:TIDIG_COMP_CNT: 0
; COMPUTE_PGM_RSRC3_GFX90A:ACCUM_OFFSET: 0
; COMPUTE_PGM_RSRC3_GFX90A:TG_SPLIT: 0
	.section	.text._ZN7rocprim17ROCPRIM_400000_NS6detail17trampoline_kernelINS0_14default_configENS1_22reduce_config_selectorIfEEZNS1_11reduce_implILb1ES3_PfS7_fN6thrust23THRUST_200600_302600_NS4plusIfEEEE10hipError_tPvRmT1_T2_T3_mT4_P12ihipStream_tbEUlT_E1_NS1_11comp_targetILNS1_3genE4ELNS1_11target_archE910ELNS1_3gpuE8ELNS1_3repE0EEENS1_30default_config_static_selectorELNS0_4arch9wavefront6targetE1EEEvSF_,"axG",@progbits,_ZN7rocprim17ROCPRIM_400000_NS6detail17trampoline_kernelINS0_14default_configENS1_22reduce_config_selectorIfEEZNS1_11reduce_implILb1ES3_PfS7_fN6thrust23THRUST_200600_302600_NS4plusIfEEEE10hipError_tPvRmT1_T2_T3_mT4_P12ihipStream_tbEUlT_E1_NS1_11comp_targetILNS1_3genE4ELNS1_11target_archE910ELNS1_3gpuE8ELNS1_3repE0EEENS1_30default_config_static_selectorELNS0_4arch9wavefront6targetE1EEEvSF_,comdat
	.protected	_ZN7rocprim17ROCPRIM_400000_NS6detail17trampoline_kernelINS0_14default_configENS1_22reduce_config_selectorIfEEZNS1_11reduce_implILb1ES3_PfS7_fN6thrust23THRUST_200600_302600_NS4plusIfEEEE10hipError_tPvRmT1_T2_T3_mT4_P12ihipStream_tbEUlT_E1_NS1_11comp_targetILNS1_3genE4ELNS1_11target_archE910ELNS1_3gpuE8ELNS1_3repE0EEENS1_30default_config_static_selectorELNS0_4arch9wavefront6targetE1EEEvSF_ ; -- Begin function _ZN7rocprim17ROCPRIM_400000_NS6detail17trampoline_kernelINS0_14default_configENS1_22reduce_config_selectorIfEEZNS1_11reduce_implILb1ES3_PfS7_fN6thrust23THRUST_200600_302600_NS4plusIfEEEE10hipError_tPvRmT1_T2_T3_mT4_P12ihipStream_tbEUlT_E1_NS1_11comp_targetILNS1_3genE4ELNS1_11target_archE910ELNS1_3gpuE8ELNS1_3repE0EEENS1_30default_config_static_selectorELNS0_4arch9wavefront6targetE1EEEvSF_
	.globl	_ZN7rocprim17ROCPRIM_400000_NS6detail17trampoline_kernelINS0_14default_configENS1_22reduce_config_selectorIfEEZNS1_11reduce_implILb1ES3_PfS7_fN6thrust23THRUST_200600_302600_NS4plusIfEEEE10hipError_tPvRmT1_T2_T3_mT4_P12ihipStream_tbEUlT_E1_NS1_11comp_targetILNS1_3genE4ELNS1_11target_archE910ELNS1_3gpuE8ELNS1_3repE0EEENS1_30default_config_static_selectorELNS0_4arch9wavefront6targetE1EEEvSF_
	.p2align	8
	.type	_ZN7rocprim17ROCPRIM_400000_NS6detail17trampoline_kernelINS0_14default_configENS1_22reduce_config_selectorIfEEZNS1_11reduce_implILb1ES3_PfS7_fN6thrust23THRUST_200600_302600_NS4plusIfEEEE10hipError_tPvRmT1_T2_T3_mT4_P12ihipStream_tbEUlT_E1_NS1_11comp_targetILNS1_3genE4ELNS1_11target_archE910ELNS1_3gpuE8ELNS1_3repE0EEENS1_30default_config_static_selectorELNS0_4arch9wavefront6targetE1EEEvSF_,@function
_ZN7rocprim17ROCPRIM_400000_NS6detail17trampoline_kernelINS0_14default_configENS1_22reduce_config_selectorIfEEZNS1_11reduce_implILb1ES3_PfS7_fN6thrust23THRUST_200600_302600_NS4plusIfEEEE10hipError_tPvRmT1_T2_T3_mT4_P12ihipStream_tbEUlT_E1_NS1_11comp_targetILNS1_3genE4ELNS1_11target_archE910ELNS1_3gpuE8ELNS1_3repE0EEENS1_30default_config_static_selectorELNS0_4arch9wavefront6targetE1EEEvSF_: ; @_ZN7rocprim17ROCPRIM_400000_NS6detail17trampoline_kernelINS0_14default_configENS1_22reduce_config_selectorIfEEZNS1_11reduce_implILb1ES3_PfS7_fN6thrust23THRUST_200600_302600_NS4plusIfEEEE10hipError_tPvRmT1_T2_T3_mT4_P12ihipStream_tbEUlT_E1_NS1_11comp_targetILNS1_3genE4ELNS1_11target_archE910ELNS1_3gpuE8ELNS1_3repE0EEENS1_30default_config_static_selectorELNS0_4arch9wavefront6targetE1EEEvSF_
; %bb.0:
	s_load_dword s33, s[4:5], 0x4
	s_load_dwordx4 s[68:71], s[4:5], 0x8
	s_waitcnt lgkmcnt(0)
	s_cmp_lt_i32 s33, 8
	s_cbranch_scc1 .LBB11_11
; %bb.1:
	s_cmp_gt_i32 s33, 15
	s_cbranch_scc0 .LBB11_12
; %bb.2:
	s_cmp_gt_i32 s33, 31
	s_cbranch_scc0 .LBB11_13
; %bb.3:
	s_cmp_eq_u32 s33, 32
	s_mov_b64 s[66:67], 0
	s_cbranch_scc0 .LBB11_14
; %bb.4:
	s_mov_b32 s7, 0
	s_lshl_b32 s0, s6, 12
	s_mov_b32 s1, s7
	s_lshr_b64 s[2:3], s[70:71], 12
	s_lshl_b64 s[8:9], s[0:1], 2
	s_add_u32 s72, s68, s8
	s_addc_u32 s73, s69, s9
	s_cmp_lg_u64 s[2:3], s[6:7]
	s_cbranch_scc0 .LBB11_23
; %bb.5:
	v_lshlrev_b32_e32 v1, 2, v0
	global_load_dword v6, v1, s[72:73]
	global_load_dword v7, v1, s[72:73] offset:512
	global_load_dword v8, v1, s[72:73] offset:1024
	;; [unrolled: 1-line block ×7, first 2 shown]
	v_mov_b32_e32 v2, s73
	v_add_co_u32_e32 v4, vcc, s72, v1
	v_addc_co_u32_e32 v5, vcc, 0, v2, vcc
	v_add_co_u32_e32 v2, vcc, 0x1000, v4
	v_addc_co_u32_e32 v3, vcc, 0, v5, vcc
	global_load_dword v1, v[2:3], off
	global_load_dword v14, v[2:3], off offset:512
	global_load_dword v15, v[2:3], off offset:1024
	global_load_dword v16, v[2:3], off offset:1536
	global_load_dword v17, v[2:3], off offset:2048
	global_load_dword v18, v[2:3], off offset:2560
	global_load_dword v19, v[2:3], off offset:3072
	global_load_dword v20, v[2:3], off offset:3584
	v_add_co_u32_e32 v2, vcc, 0x2000, v4
	v_addc_co_u32_e32 v3, vcc, 0, v5, vcc
	global_load_dword v21, v[2:3], off
	global_load_dword v22, v[2:3], off offset:512
	global_load_dword v23, v[2:3], off offset:1024
	global_load_dword v24, v[2:3], off offset:1536
	global_load_dword v25, v[2:3], off offset:2048
	global_load_dword v26, v[2:3], off offset:2560
	global_load_dword v27, v[2:3], off offset:3072
	global_load_dword v28, v[2:3], off offset:3584
	;; [unrolled: 10-line block ×3, first 2 shown]
	v_mbcnt_lo_u32_b32 v2, -1, 0
	v_mbcnt_hi_u32_b32 v2, -1, v2
	v_lshlrev_b32_e32 v3, 2, v2
	v_cmp_eq_u32_e32 vcc, 0, v2
	s_waitcnt vmcnt(30)
	v_add_f32_e32 v6, v6, v7
	s_waitcnt vmcnt(29)
	v_add_f32_e32 v6, v6, v8
	;; [unrolled: 2-line block ×31, first 2 shown]
	v_or_b32_e32 v4, 0xfc, v3
	s_nop 0
	v_add_f32_dpp v1, v1, v1 quad_perm:[1,0,3,2] row_mask:0xf bank_mask:0xf bound_ctrl:1
	s_nop 1
	v_add_f32_dpp v1, v1, v1 quad_perm:[2,3,0,1] row_mask:0xf bank_mask:0xf bound_ctrl:1
	s_nop 1
	v_add_f32_dpp v1, v1, v1 row_ror:4 row_mask:0xf bank_mask:0xf bound_ctrl:1
	s_nop 1
	v_add_f32_dpp v1, v1, v1 row_ror:8 row_mask:0xf bank_mask:0xf bound_ctrl:1
	s_nop 1
	v_add_f32_dpp v1, v1, v1 row_bcast:15 row_mask:0xf bank_mask:0xf bound_ctrl:1
	s_nop 1
	v_add_f32_dpp v1, v1, v1 row_bcast:31 row_mask:0xf bank_mask:0xf bound_ctrl:1
	ds_bpermute_b32 v1, v4, v1
	s_and_saveexec_b64 s[2:3], vcc
	s_cbranch_execz .LBB11_7
; %bb.6:
	v_lshrrev_b32_e32 v4, 4, v0
	v_and_b32_e32 v4, 4, v4
	s_waitcnt lgkmcnt(0)
	ds_write_b32 v4, v1 offset:24
.LBB11_7:
	s_or_b64 exec, exec, s[2:3]
	v_cmp_gt_u32_e32 vcc, 64, v0
	s_waitcnt lgkmcnt(0)
	s_barrier
	s_and_saveexec_b64 s[2:3], vcc
	s_cbranch_execz .LBB11_9
; %bb.8:
	v_and_b32_e32 v1, 1, v2
	v_lshlrev_b32_e32 v1, 2, v1
	ds_read_b32 v1, v1 offset:24
	v_or_b32_e32 v2, 4, v3
	s_waitcnt lgkmcnt(0)
	ds_bpermute_b32 v2, v2, v1
	s_waitcnt lgkmcnt(0)
	v_add_f32_e32 v1, v1, v2
.LBB11_9:
	s_or_b64 exec, exec, s[2:3]
.LBB11_10:
	v_cmp_eq_u32_e64 s[0:1], 0, v0
	s_and_b64 vcc, exec, s[66:67]
	s_cbranch_vccnz .LBB11_15
	s_branch .LBB11_93
.LBB11_11:
	s_mov_b64 s[0:1], 0
                                        ; implicit-def: $vgpr1
	s_cbranch_execnz .LBB11_166
	s_branch .LBB11_224
.LBB11_12:
	s_mov_b64 s[0:1], 0
                                        ; implicit-def: $vgpr1
	s_cbranch_execnz .LBB11_134
	s_branch .LBB11_142
.LBB11_13:
	s_mov_b64 s[66:67], -1
.LBB11_14:
	s_mov_b64 s[0:1], 0
                                        ; implicit-def: $vgpr1
	s_and_b64 vcc, exec, s[66:67]
	s_cbranch_vccz .LBB11_93
.LBB11_15:
	s_cmp_eq_u32 s33, 16
	s_cbranch_scc0 .LBB11_22
; %bb.16:
	s_mov_b32 s7, 0
	s_lshl_b32 s0, s6, 11
	s_mov_b32 s1, s7
	s_lshr_b64 s[2:3], s[70:71], 11
	s_lshl_b64 s[8:9], s[0:1], 2
	s_add_u32 s34, s68, s8
	s_addc_u32 s35, s69, s9
	s_cmp_lg_u64 s[2:3], s[6:7]
	s_cbranch_scc0 .LBB11_94
; %bb.17:
	v_lshlrev_b32_e32 v1, 2, v0
	global_load_dword v5, v1, s[34:35]
	global_load_dword v6, v1, s[34:35] offset:512
	global_load_dword v7, v1, s[34:35] offset:1024
	;; [unrolled: 1-line block ×7, first 2 shown]
	v_mov_b32_e32 v2, s35
	v_add_co_u32_e32 v3, vcc, s34, v1
	v_addc_co_u32_e32 v4, vcc, 0, v2, vcc
	v_add_co_u32_e32 v2, vcc, 0x1000, v3
	v_addc_co_u32_e32 v3, vcc, 0, v4, vcc
	global_load_dword v1, v[2:3], off
	global_load_dword v4, v[2:3], off offset:512
	global_load_dword v13, v[2:3], off offset:1024
	;; [unrolled: 1-line block ×7, first 2 shown]
	v_mbcnt_lo_u32_b32 v2, -1, 0
	v_mbcnt_hi_u32_b32 v2, -1, v2
	v_lshlrev_b32_e32 v3, 2, v2
	v_cmp_eq_u32_e32 vcc, 0, v2
	s_waitcnt vmcnt(14)
	v_add_f32_e32 v5, v5, v6
	s_waitcnt vmcnt(13)
	v_add_f32_e32 v5, v5, v7
	;; [unrolled: 2-line block ×15, first 2 shown]
	v_or_b32_e32 v4, 0xfc, v3
	s_nop 0
	v_add_f32_dpp v1, v1, v1 quad_perm:[1,0,3,2] row_mask:0xf bank_mask:0xf bound_ctrl:1
	s_nop 1
	v_add_f32_dpp v1, v1, v1 quad_perm:[2,3,0,1] row_mask:0xf bank_mask:0xf bound_ctrl:1
	s_nop 1
	v_add_f32_dpp v1, v1, v1 row_ror:4 row_mask:0xf bank_mask:0xf bound_ctrl:1
	s_nop 1
	v_add_f32_dpp v1, v1, v1 row_ror:8 row_mask:0xf bank_mask:0xf bound_ctrl:1
	s_nop 1
	v_add_f32_dpp v1, v1, v1 row_bcast:15 row_mask:0xf bank_mask:0xf bound_ctrl:1
	s_nop 1
	v_add_f32_dpp v1, v1, v1 row_bcast:31 row_mask:0xf bank_mask:0xf bound_ctrl:1
	ds_bpermute_b32 v1, v4, v1
	s_and_saveexec_b64 s[2:3], vcc
	s_cbranch_execz .LBB11_19
; %bb.18:
	v_lshrrev_b32_e32 v4, 4, v0
	v_and_b32_e32 v4, 4, v4
	s_waitcnt lgkmcnt(0)
	ds_write_b32 v4, v1
.LBB11_19:
	s_or_b64 exec, exec, s[2:3]
	v_cmp_gt_u32_e32 vcc, 64, v0
	s_waitcnt lgkmcnt(0)
	s_barrier
	s_and_saveexec_b64 s[2:3], vcc
	s_cbranch_execz .LBB11_21
; %bb.20:
	v_and_b32_e32 v1, 1, v2
	v_lshlrev_b32_e32 v1, 2, v1
	ds_read_b32 v1, v1
	v_or_b32_e32 v2, 4, v3
	s_waitcnt lgkmcnt(0)
	ds_bpermute_b32 v2, v2, v1
	s_waitcnt lgkmcnt(0)
	v_add_f32_e32 v1, v1, v2
.LBB11_21:
	s_or_b64 exec, exec, s[2:3]
	s_mov_b64 s[2:3], 0
	s_branch .LBB11_95
.LBB11_22:
                                        ; implicit-def: $vgpr1
	s_branch .LBB11_142
.LBB11_23:
                                        ; implicit-def: $vgpr1
	s_cbranch_execz .LBB11_10
; %bb.24:
	s_sub_i32 s76, s70, s0
	v_cmp_gt_u32_e32 vcc, s76, v0
                                        ; implicit-def: $vgpr1
	s_and_saveexec_b64 s[0:1], vcc
	s_cbranch_execz .LBB11_26
; %bb.25:
	v_lshlrev_b32_e32 v1, 2, v0
	global_load_dword v1, v1, s[72:73]
.LBB11_26:
	s_or_b64 exec, exec, s[0:1]
	v_or_b32_e32 v2, 0x80, v0
	v_cmp_gt_u32_e32 vcc, s76, v2
                                        ; implicit-def: $vgpr2
	s_and_saveexec_b64 s[0:1], vcc
	s_cbranch_execz .LBB11_28
; %bb.27:
	v_lshlrev_b32_e32 v2, 2, v0
	global_load_dword v2, v2, s[72:73] offset:512
.LBB11_28:
	s_or_b64 exec, exec, s[0:1]
	v_or_b32_e32 v3, 0x100, v0
	v_cmp_gt_u32_e64 s[0:1], s76, v3
                                        ; implicit-def: $vgpr3
	s_and_saveexec_b64 s[2:3], s[0:1]
	s_cbranch_execz .LBB11_30
; %bb.29:
	v_lshlrev_b32_e32 v3, 2, v0
	global_load_dword v3, v3, s[72:73] offset:1024
.LBB11_30:
	s_or_b64 exec, exec, s[2:3]
	v_or_b32_e32 v4, 0x180, v0
	v_cmp_gt_u32_e64 s[2:3], s76, v4
                                        ; implicit-def: $vgpr4
	s_and_saveexec_b64 s[8:9], s[2:3]
	s_cbranch_execz .LBB11_32
; %bb.31:
	v_lshlrev_b32_e32 v4, 2, v0
	global_load_dword v4, v4, s[72:73] offset:1536
.LBB11_32:
	s_or_b64 exec, exec, s[8:9]
	v_or_b32_e32 v5, 0x200, v0
	v_cmp_gt_u32_e64 s[8:9], s76, v5
                                        ; implicit-def: $vgpr5
	s_and_saveexec_b64 s[10:11], s[8:9]
	s_cbranch_execz .LBB11_34
; %bb.33:
	v_lshlrev_b32_e32 v5, 2, v0
	global_load_dword v5, v5, s[72:73] offset:2048
.LBB11_34:
	s_or_b64 exec, exec, s[10:11]
	v_or_b32_e32 v6, 0x280, v0
	v_cmp_gt_u32_e64 s[10:11], s76, v6
                                        ; implicit-def: $vgpr6
	s_and_saveexec_b64 s[12:13], s[10:11]
	s_cbranch_execz .LBB11_36
; %bb.35:
	v_lshlrev_b32_e32 v6, 2, v0
	global_load_dword v6, v6, s[72:73] offset:2560
.LBB11_36:
	s_or_b64 exec, exec, s[12:13]
	v_or_b32_e32 v7, 0x300, v0
	v_cmp_gt_u32_e64 s[12:13], s76, v7
                                        ; implicit-def: $vgpr7
	s_and_saveexec_b64 s[14:15], s[12:13]
	s_cbranch_execz .LBB11_38
; %bb.37:
	v_lshlrev_b32_e32 v7, 2, v0
	global_load_dword v7, v7, s[72:73] offset:3072
.LBB11_38:
	s_or_b64 exec, exec, s[14:15]
	v_or_b32_e32 v8, 0x380, v0
	v_cmp_gt_u32_e64 s[14:15], s76, v8
                                        ; implicit-def: $vgpr8
	s_and_saveexec_b64 s[16:17], s[14:15]
	s_cbranch_execz .LBB11_40
; %bb.39:
	v_lshlrev_b32_e32 v8, 2, v0
	global_load_dword v8, v8, s[72:73] offset:3584
.LBB11_40:
	s_or_b64 exec, exec, s[16:17]
	v_or_b32_e32 v10, 0x400, v0
	v_cmp_gt_u32_e64 s[16:17], s76, v10
                                        ; implicit-def: $vgpr9
	s_and_saveexec_b64 s[18:19], s[16:17]
	s_cbranch_execz .LBB11_42
; %bb.41:
	v_lshlrev_b32_e32 v9, 2, v10
	global_load_dword v9, v9, s[72:73]
.LBB11_42:
	s_or_b64 exec, exec, s[18:19]
	v_or_b32_e32 v11, 0x480, v0
	v_cmp_gt_u32_e64 s[18:19], s76, v11
                                        ; implicit-def: $vgpr10
	s_and_saveexec_b64 s[20:21], s[18:19]
	s_cbranch_execz .LBB11_44
; %bb.43:
	v_lshlrev_b32_e32 v10, 2, v11
	global_load_dword v10, v10, s[72:73]
.LBB11_44:
	s_or_b64 exec, exec, s[20:21]
	v_or_b32_e32 v12, 0x500, v0
	v_cmp_gt_u32_e64 s[20:21], s76, v12
                                        ; implicit-def: $vgpr11
	s_and_saveexec_b64 s[22:23], s[20:21]
	s_cbranch_execz .LBB11_46
; %bb.45:
	v_lshlrev_b32_e32 v11, 2, v12
	global_load_dword v11, v11, s[72:73]
.LBB11_46:
	s_or_b64 exec, exec, s[22:23]
	v_or_b32_e32 v13, 0x580, v0
	v_cmp_gt_u32_e64 s[22:23], s76, v13
                                        ; implicit-def: $vgpr12
	s_and_saveexec_b64 s[24:25], s[22:23]
	s_cbranch_execz .LBB11_48
; %bb.47:
	v_lshlrev_b32_e32 v12, 2, v13
	global_load_dword v12, v12, s[72:73]
.LBB11_48:
	s_or_b64 exec, exec, s[24:25]
	v_or_b32_e32 v14, 0x600, v0
	v_cmp_gt_u32_e64 s[24:25], s76, v14
                                        ; implicit-def: $vgpr13
	s_and_saveexec_b64 s[26:27], s[24:25]
	s_cbranch_execz .LBB11_50
; %bb.49:
	v_lshlrev_b32_e32 v13, 2, v14
	global_load_dword v13, v13, s[72:73]
.LBB11_50:
	s_or_b64 exec, exec, s[26:27]
	v_or_b32_e32 v15, 0x680, v0
	v_cmp_gt_u32_e64 s[26:27], s76, v15
                                        ; implicit-def: $vgpr14
	s_and_saveexec_b64 s[28:29], s[26:27]
	s_cbranch_execz .LBB11_52
; %bb.51:
	v_lshlrev_b32_e32 v14, 2, v15
	global_load_dword v14, v14, s[72:73]
.LBB11_52:
	s_or_b64 exec, exec, s[28:29]
	v_or_b32_e32 v16, 0x700, v0
	v_cmp_gt_u32_e64 s[28:29], s76, v16
                                        ; implicit-def: $vgpr15
	s_and_saveexec_b64 s[30:31], s[28:29]
	s_cbranch_execz .LBB11_54
; %bb.53:
	v_lshlrev_b32_e32 v15, 2, v16
	global_load_dword v15, v15, s[72:73]
.LBB11_54:
	s_or_b64 exec, exec, s[30:31]
	v_or_b32_e32 v17, 0x780, v0
	v_cmp_gt_u32_e64 s[30:31], s76, v17
                                        ; implicit-def: $vgpr16
	s_and_saveexec_b64 s[34:35], s[30:31]
	s_cbranch_execz .LBB11_56
; %bb.55:
	v_lshlrev_b32_e32 v16, 2, v17
	global_load_dword v16, v16, s[72:73]
.LBB11_56:
	s_or_b64 exec, exec, s[34:35]
	v_or_b32_e32 v18, 0x800, v0
	v_cmp_gt_u32_e64 s[34:35], s76, v18
                                        ; implicit-def: $vgpr17
	s_and_saveexec_b64 s[36:37], s[34:35]
	s_cbranch_execz .LBB11_58
; %bb.57:
	v_lshlrev_b32_e32 v17, 2, v18
	global_load_dword v17, v17, s[72:73]
.LBB11_58:
	s_or_b64 exec, exec, s[36:37]
	v_or_b32_e32 v19, 0x880, v0
	v_cmp_gt_u32_e64 s[36:37], s76, v19
                                        ; implicit-def: $vgpr18
	s_and_saveexec_b64 s[38:39], s[36:37]
	s_cbranch_execz .LBB11_60
; %bb.59:
	v_lshlrev_b32_e32 v18, 2, v19
	global_load_dword v18, v18, s[72:73]
.LBB11_60:
	s_or_b64 exec, exec, s[38:39]
	v_or_b32_e32 v20, 0x900, v0
	v_cmp_gt_u32_e64 s[38:39], s76, v20
                                        ; implicit-def: $vgpr19
	s_and_saveexec_b64 s[40:41], s[38:39]
	s_cbranch_execz .LBB11_62
; %bb.61:
	v_lshlrev_b32_e32 v19, 2, v20
	global_load_dword v19, v19, s[72:73]
.LBB11_62:
	s_or_b64 exec, exec, s[40:41]
	v_or_b32_e32 v21, 0x980, v0
	v_cmp_gt_u32_e64 s[40:41], s76, v21
                                        ; implicit-def: $vgpr20
	s_and_saveexec_b64 s[42:43], s[40:41]
	s_cbranch_execz .LBB11_64
; %bb.63:
	v_lshlrev_b32_e32 v20, 2, v21
	global_load_dword v20, v20, s[72:73]
.LBB11_64:
	s_or_b64 exec, exec, s[42:43]
	v_or_b32_e32 v22, 0xa00, v0
	v_cmp_gt_u32_e64 s[42:43], s76, v22
                                        ; implicit-def: $vgpr21
	s_and_saveexec_b64 s[44:45], s[42:43]
	s_cbranch_execz .LBB11_66
; %bb.65:
	v_lshlrev_b32_e32 v21, 2, v22
	global_load_dword v21, v21, s[72:73]
.LBB11_66:
	s_or_b64 exec, exec, s[44:45]
	v_or_b32_e32 v23, 0xa80, v0
	v_cmp_gt_u32_e64 s[44:45], s76, v23
                                        ; implicit-def: $vgpr22
	s_and_saveexec_b64 s[46:47], s[44:45]
	s_cbranch_execz .LBB11_68
; %bb.67:
	v_lshlrev_b32_e32 v22, 2, v23
	global_load_dword v22, v22, s[72:73]
.LBB11_68:
	s_or_b64 exec, exec, s[46:47]
	v_or_b32_e32 v24, 0xb00, v0
	v_cmp_gt_u32_e64 s[46:47], s76, v24
                                        ; implicit-def: $vgpr23
	s_and_saveexec_b64 s[48:49], s[46:47]
	s_cbranch_execz .LBB11_70
; %bb.69:
	v_lshlrev_b32_e32 v23, 2, v24
	global_load_dword v23, v23, s[72:73]
.LBB11_70:
	s_or_b64 exec, exec, s[48:49]
	v_or_b32_e32 v25, 0xb80, v0
	v_cmp_gt_u32_e64 s[48:49], s76, v25
                                        ; implicit-def: $vgpr24
	s_and_saveexec_b64 s[50:51], s[48:49]
	s_cbranch_execz .LBB11_72
; %bb.71:
	v_lshlrev_b32_e32 v24, 2, v25
	global_load_dword v24, v24, s[72:73]
.LBB11_72:
	s_or_b64 exec, exec, s[50:51]
	v_or_b32_e32 v26, 0xc00, v0
	v_cmp_gt_u32_e64 s[50:51], s76, v26
                                        ; implicit-def: $vgpr25
	s_and_saveexec_b64 s[52:53], s[50:51]
	s_cbranch_execz .LBB11_74
; %bb.73:
	v_lshlrev_b32_e32 v25, 2, v26
	global_load_dword v25, v25, s[72:73]
.LBB11_74:
	s_or_b64 exec, exec, s[52:53]
	v_or_b32_e32 v27, 0xc80, v0
	v_cmp_gt_u32_e64 s[52:53], s76, v27
                                        ; implicit-def: $vgpr26
	s_and_saveexec_b64 s[54:55], s[52:53]
	s_cbranch_execz .LBB11_76
; %bb.75:
	v_lshlrev_b32_e32 v26, 2, v27
	global_load_dword v26, v26, s[72:73]
.LBB11_76:
	s_or_b64 exec, exec, s[54:55]
	v_or_b32_e32 v28, 0xd00, v0
	v_cmp_gt_u32_e64 s[54:55], s76, v28
                                        ; implicit-def: $vgpr27
	s_and_saveexec_b64 s[56:57], s[54:55]
	s_cbranch_execz .LBB11_78
; %bb.77:
	v_lshlrev_b32_e32 v27, 2, v28
	global_load_dword v27, v27, s[72:73]
.LBB11_78:
	s_or_b64 exec, exec, s[56:57]
	v_or_b32_e32 v29, 0xd80, v0
	v_cmp_gt_u32_e64 s[56:57], s76, v29
                                        ; implicit-def: $vgpr28
	s_and_saveexec_b64 s[58:59], s[56:57]
	s_cbranch_execz .LBB11_80
; %bb.79:
	v_lshlrev_b32_e32 v28, 2, v29
	global_load_dword v28, v28, s[72:73]
.LBB11_80:
	s_or_b64 exec, exec, s[58:59]
	v_or_b32_e32 v30, 0xe00, v0
	v_cmp_gt_u32_e64 s[58:59], s76, v30
                                        ; implicit-def: $vgpr29
	s_and_saveexec_b64 s[60:61], s[58:59]
	s_cbranch_execz .LBB11_82
; %bb.81:
	v_lshlrev_b32_e32 v29, 2, v30
	global_load_dword v29, v29, s[72:73]
.LBB11_82:
	s_or_b64 exec, exec, s[60:61]
	v_or_b32_e32 v31, 0xe80, v0
	v_cmp_gt_u32_e64 s[60:61], s76, v31
                                        ; implicit-def: $vgpr30
	s_and_saveexec_b64 s[62:63], s[60:61]
	s_cbranch_execz .LBB11_84
; %bb.83:
	v_lshlrev_b32_e32 v30, 2, v31
	global_load_dword v30, v30, s[72:73]
.LBB11_84:
	s_or_b64 exec, exec, s[62:63]
	v_or_b32_e32 v32, 0xf00, v0
	v_cmp_gt_u32_e64 s[62:63], s76, v32
                                        ; implicit-def: $vgpr31
	s_and_saveexec_b64 s[64:65], s[62:63]
	s_cbranch_execz .LBB11_86
; %bb.85:
	v_lshlrev_b32_e32 v31, 2, v32
	global_load_dword v31, v31, s[72:73]
.LBB11_86:
	s_or_b64 exec, exec, s[64:65]
	v_or_b32_e32 v33, 0xf80, v0
	v_cmp_gt_u32_e64 s[64:65], s76, v33
                                        ; implicit-def: $vgpr32
	s_and_saveexec_b64 s[74:75], s[64:65]
	s_cbranch_execz .LBB11_88
; %bb.87:
	v_lshlrev_b32_e32 v32, 2, v33
	global_load_dword v32, v32, s[72:73]
.LBB11_88:
	s_or_b64 exec, exec, s[74:75]
	s_waitcnt vmcnt(0)
	v_add_f32_e32 v2, v1, v2
	v_cndmask_b32_e32 v1, v1, v2, vcc
	v_add_f32_e32 v2, v1, v3
	v_cndmask_b32_e64 v1, v1, v2, s[0:1]
	v_add_f32_e32 v2, v1, v4
	v_cndmask_b32_e64 v1, v1, v2, s[2:3]
	;; [unrolled: 2-line block ×30, first 2 shown]
	v_mbcnt_lo_u32_b32 v2, -1, 0
	v_mbcnt_hi_u32_b32 v2, -1, v2
	v_and_b32_e32 v3, 63, v2
	v_cmp_ne_u32_e32 vcc, 63, v3
	v_addc_co_u32_e32 v4, vcc, 0, v2, vcc
	v_lshlrev_b32_e32 v4, 2, v4
	ds_bpermute_b32 v4, v4, v1
	s_min_u32 s2, s76, 0x80
	v_and_b32_e32 v5, 64, v0
	v_sub_u32_e64 v5, s2, v5 clamp
	v_add_u32_e32 v6, 1, v3
	v_cmp_gt_u32_e64 s[0:1], 62, v3
	v_cmp_lt_u32_e32 vcc, v6, v5
	v_cndmask_b32_e64 v6, 0, 1, s[0:1]
	s_waitcnt lgkmcnt(0)
	v_add_f32_e32 v4, v1, v4
	v_lshlrev_b32_e32 v6, 1, v6
	v_cndmask_b32_e32 v4, v1, v4, vcc
	v_add_lshl_u32 v6, v6, v2, 2
	ds_bpermute_b32 v6, v6, v4
	v_add_u32_e32 v7, 2, v3
	v_cmp_lt_u32_e64 s[0:1], v7, v5
	v_add_u32_e32 v7, 4, v3
	s_waitcnt lgkmcnt(0)
	v_add_f32_e32 v6, v4, v6
	v_cndmask_b32_e64 v4, v4, v6, s[0:1]
	v_cmp_gt_u32_e64 s[0:1], 60, v3
	v_cndmask_b32_e64 v6, 0, 1, s[0:1]
	v_lshlrev_b32_e32 v6, 2, v6
	v_add_lshl_u32 v6, v6, v2, 2
	ds_bpermute_b32 v6, v6, v4
	v_cmp_lt_u32_e64 s[0:1], v7, v5
	v_add_u32_e32 v7, 8, v3
	s_waitcnt lgkmcnt(0)
	v_add_f32_e32 v6, v4, v6
	v_cndmask_b32_e64 v4, v4, v6, s[0:1]
	v_cmp_gt_u32_e64 s[0:1], 56, v3
	v_cndmask_b32_e64 v6, 0, 1, s[0:1]
	v_lshlrev_b32_e32 v6, 3, v6
	v_add_lshl_u32 v6, v6, v2, 2
	ds_bpermute_b32 v6, v6, v4
	;; [unrolled: 10-line block ×3, first 2 shown]
	v_cmp_lt_u32_e64 s[0:1], v7, v5
	s_waitcnt lgkmcnt(0)
	v_add_f32_e32 v6, v4, v6
	v_cndmask_b32_e64 v4, v4, v6, s[0:1]
	v_cmp_gt_u32_e64 s[0:1], 32, v3
	v_cndmask_b32_e64 v6, 0, 1, s[0:1]
	v_lshlrev_b32_e32 v6, 5, v6
	v_add_lshl_u32 v6, v6, v2, 2
	ds_bpermute_b32 v6, v6, v4
	v_add_u32_e32 v3, 32, v3
	v_cmp_lt_u32_e64 s[0:1], v3, v5
	s_waitcnt lgkmcnt(0)
	v_add_f32_e32 v6, v4, v6
	v_cndmask_b32_e64 v3, v4, v6, s[0:1]
	v_cndmask_b32_e32 v1, v1, v3, vcc
	v_cmp_eq_u32_e32 vcc, 0, v2
	s_and_saveexec_b64 s[0:1], vcc
	s_cbranch_execz .LBB11_90
; %bb.89:
	v_lshrrev_b32_e32 v3, 4, v0
	v_and_b32_e32 v3, 4, v3
	ds_write_b32 v3, v1 offset:48
.LBB11_90:
	s_or_b64 exec, exec, s[0:1]
	v_cmp_gt_u32_e32 vcc, 2, v0
	s_waitcnt lgkmcnt(0)
	s_barrier
	s_and_saveexec_b64 s[0:1], vcc
	s_cbranch_execz .LBB11_92
; %bb.91:
	v_lshlrev_b32_e32 v1, 2, v2
	ds_read_b32 v3, v1 offset:48
	v_or_b32_e32 v1, 4, v1
	s_add_i32 s2, s2, 63
	v_and_b32_e32 v2, 1, v2
	s_lshr_b32 s2, s2, 6
	s_waitcnt lgkmcnt(0)
	ds_bpermute_b32 v1, v1, v3
	v_add_u32_e32 v2, 1, v2
	v_cmp_gt_u32_e32 vcc, s2, v2
	s_waitcnt lgkmcnt(0)
	v_add_f32_e32 v1, v3, v1
	v_cndmask_b32_e32 v1, v3, v1, vcc
.LBB11_92:
	s_or_b64 exec, exec, s[0:1]
	v_cmp_eq_u32_e64 s[0:1], 0, v0
	s_and_b64 vcc, exec, s[66:67]
	s_cbranch_vccnz .LBB11_15
.LBB11_93:
	s_branch .LBB11_142
.LBB11_94:
	s_mov_b64 s[2:3], -1
                                        ; implicit-def: $vgpr1
.LBB11_95:
	s_and_b64 vcc, exec, s[2:3]
	s_cbranch_vccz .LBB11_133
; %bb.96:
	s_sub_i32 s38, s70, s0
	v_cmp_gt_u32_e32 vcc, s38, v0
                                        ; implicit-def: $vgpr2_vgpr3_vgpr4_vgpr5_vgpr6_vgpr7_vgpr8_vgpr9_vgpr10_vgpr11_vgpr12_vgpr13_vgpr14_vgpr15_vgpr16_vgpr17
	s_and_saveexec_b64 s[0:1], vcc
	s_cbranch_execz .LBB11_98
; %bb.97:
	v_lshlrev_b32_e32 v1, 2, v0
	global_load_dword v2, v1, s[34:35]
.LBB11_98:
	s_or_b64 exec, exec, s[0:1]
	v_or_b32_e32 v1, 0x80, v0
	v_cmp_gt_u32_e32 vcc, s38, v1
	s_and_saveexec_b64 s[0:1], vcc
	s_cbranch_execz .LBB11_100
; %bb.99:
	v_lshlrev_b32_e32 v1, 2, v0
	global_load_dword v3, v1, s[34:35] offset:512
.LBB11_100:
	s_or_b64 exec, exec, s[0:1]
	v_or_b32_e32 v1, 0x100, v0
	v_cmp_gt_u32_e64 s[0:1], s38, v1
	s_and_saveexec_b64 s[2:3], s[0:1]
	s_cbranch_execz .LBB11_102
; %bb.101:
	v_lshlrev_b32_e32 v1, 2, v0
	global_load_dword v4, v1, s[34:35] offset:1024
.LBB11_102:
	s_or_b64 exec, exec, s[2:3]
	v_or_b32_e32 v1, 0x180, v0
	v_cmp_gt_u32_e64 s[2:3], s38, v1
	s_and_saveexec_b64 s[8:9], s[2:3]
	;; [unrolled: 9-line block ×7, first 2 shown]
	s_cbranch_execz .LBB11_114
; %bb.113:
	v_lshlrev_b32_e32 v1, 2, v1
	global_load_dword v10, v1, s[34:35]
.LBB11_114:
	s_or_b64 exec, exec, s[18:19]
	v_or_b32_e32 v1, 0x480, v0
	v_cmp_gt_u32_e64 s[18:19], s38, v1
	s_and_saveexec_b64 s[20:21], s[18:19]
	s_cbranch_execz .LBB11_116
; %bb.115:
	v_lshlrev_b32_e32 v1, 2, v1
	global_load_dword v11, v1, s[34:35]
.LBB11_116:
	s_or_b64 exec, exec, s[20:21]
	v_or_b32_e32 v1, 0x500, v0
	v_cmp_gt_u32_e64 s[20:21], s38, v1
	s_and_saveexec_b64 s[22:23], s[20:21]
	;; [unrolled: 9-line block ×7, first 2 shown]
	s_cbranch_execz .LBB11_128
; %bb.127:
	v_lshlrev_b32_e32 v1, 2, v1
	global_load_dword v17, v1, s[34:35]
.LBB11_128:
	s_or_b64 exec, exec, s[36:37]
	s_waitcnt vmcnt(0)
	v_add_f32_e32 v1, v2, v3
	v_cndmask_b32_e32 v1, v2, v1, vcc
	v_add_f32_e32 v2, v4, v1
	v_cndmask_b32_e64 v1, v1, v2, s[0:1]
	v_add_f32_e32 v2, v5, v1
	v_cndmask_b32_e64 v1, v1, v2, s[2:3]
	;; [unrolled: 2-line block ×14, first 2 shown]
	v_mbcnt_lo_u32_b32 v2, -1, 0
	v_mbcnt_hi_u32_b32 v2, -1, v2
	v_and_b32_e32 v3, 63, v2
	v_cmp_ne_u32_e32 vcc, 63, v3
	v_addc_co_u32_e32 v4, vcc, 0, v2, vcc
	v_lshlrev_b32_e32 v4, 2, v4
	ds_bpermute_b32 v4, v4, v1
	s_min_u32 s2, s38, 0x80
	v_and_b32_e32 v5, 64, v0
	v_sub_u32_e64 v5, s2, v5 clamp
	v_add_u32_e32 v6, 1, v3
	v_cmp_gt_u32_e64 s[0:1], 62, v3
	v_cmp_lt_u32_e32 vcc, v6, v5
	v_cndmask_b32_e64 v6, 0, 1, s[0:1]
	s_waitcnt lgkmcnt(0)
	v_add_f32_e32 v4, v1, v4
	v_lshlrev_b32_e32 v6, 1, v6
	v_cndmask_b32_e32 v4, v1, v4, vcc
	v_add_lshl_u32 v6, v6, v2, 2
	ds_bpermute_b32 v6, v6, v4
	v_add_u32_e32 v7, 2, v3
	v_cmp_lt_u32_e64 s[0:1], v7, v5
	v_add_u32_e32 v7, 4, v3
	s_waitcnt lgkmcnt(0)
	v_add_f32_e32 v6, v4, v6
	v_cndmask_b32_e64 v4, v4, v6, s[0:1]
	v_cmp_gt_u32_e64 s[0:1], 60, v3
	v_cndmask_b32_e64 v6, 0, 1, s[0:1]
	v_lshlrev_b32_e32 v6, 2, v6
	v_add_lshl_u32 v6, v6, v2, 2
	ds_bpermute_b32 v6, v6, v4
	v_cmp_lt_u32_e64 s[0:1], v7, v5
	v_add_u32_e32 v7, 8, v3
	s_waitcnt lgkmcnt(0)
	v_add_f32_e32 v6, v4, v6
	v_cndmask_b32_e64 v4, v4, v6, s[0:1]
	v_cmp_gt_u32_e64 s[0:1], 56, v3
	v_cndmask_b32_e64 v6, 0, 1, s[0:1]
	v_lshlrev_b32_e32 v6, 3, v6
	v_add_lshl_u32 v6, v6, v2, 2
	ds_bpermute_b32 v6, v6, v4
	;; [unrolled: 10-line block ×3, first 2 shown]
	v_cmp_lt_u32_e64 s[0:1], v7, v5
	s_waitcnt lgkmcnt(0)
	v_add_f32_e32 v6, v4, v6
	v_cndmask_b32_e64 v4, v4, v6, s[0:1]
	v_cmp_gt_u32_e64 s[0:1], 32, v3
	v_cndmask_b32_e64 v6, 0, 1, s[0:1]
	v_lshlrev_b32_e32 v6, 5, v6
	v_add_lshl_u32 v6, v6, v2, 2
	ds_bpermute_b32 v6, v6, v4
	v_add_u32_e32 v3, 32, v3
	v_cmp_lt_u32_e64 s[0:1], v3, v5
	s_waitcnt lgkmcnt(0)
	v_add_f32_e32 v6, v4, v6
	v_cndmask_b32_e64 v3, v4, v6, s[0:1]
	v_cndmask_b32_e32 v1, v1, v3, vcc
	v_cmp_eq_u32_e32 vcc, 0, v2
	s_and_saveexec_b64 s[0:1], vcc
	s_cbranch_execz .LBB11_130
; %bb.129:
	v_lshrrev_b32_e32 v3, 4, v0
	v_and_b32_e32 v3, 4, v3
	ds_write_b32 v3, v1 offset:48
.LBB11_130:
	s_or_b64 exec, exec, s[0:1]
	v_cmp_gt_u32_e32 vcc, 2, v0
	s_waitcnt lgkmcnt(0)
	s_barrier
	s_and_saveexec_b64 s[0:1], vcc
	s_cbranch_execz .LBB11_132
; %bb.131:
	v_lshlrev_b32_e32 v1, 2, v2
	ds_read_b32 v3, v1 offset:48
	v_or_b32_e32 v1, 4, v1
	s_add_i32 s2, s2, 63
	v_and_b32_e32 v2, 1, v2
	s_lshr_b32 s2, s2, 6
	s_waitcnt lgkmcnt(0)
	ds_bpermute_b32 v1, v1, v3
	v_add_u32_e32 v2, 1, v2
	v_cmp_gt_u32_e32 vcc, s2, v2
	s_waitcnt lgkmcnt(0)
	v_add_f32_e32 v1, v3, v1
	v_cndmask_b32_e32 v1, v3, v1, vcc
.LBB11_132:
	s_or_b64 exec, exec, s[0:1]
.LBB11_133:
	v_cmp_eq_u32_e64 s[0:1], 0, v0
	s_branch .LBB11_142
.LBB11_134:
	s_cmp_eq_u32 s33, 8
	s_cbranch_scc0 .LBB11_141
; %bb.135:
	s_mov_b32 s7, 0
	s_lshl_b32 s0, s6, 10
	s_mov_b32 s1, s7
	s_lshr_b64 s[2:3], s[70:71], 10
	s_lshl_b64 s[8:9], s[0:1], 2
	s_add_u32 s16, s68, s8
	s_addc_u32 s17, s69, s9
	s_cmp_lg_u64 s[2:3], s[6:7]
	s_cbranch_scc0 .LBB11_143
; %bb.136:
	v_lshlrev_b32_e32 v1, 2, v0
	global_load_dword v4, v1, s[16:17]
	global_load_dword v5, v1, s[16:17] offset:512
	global_load_dword v6, v1, s[16:17] offset:1024
	;; [unrolled: 1-line block ×7, first 2 shown]
	v_mbcnt_lo_u32_b32 v1, -1, 0
	v_mbcnt_hi_u32_b32 v2, -1, v1
	v_lshlrev_b32_e32 v3, 2, v2
	v_cmp_eq_u32_e32 vcc, 0, v2
	s_waitcnt vmcnt(6)
	v_add_f32_e32 v1, v4, v5
	s_waitcnt vmcnt(5)
	v_add_f32_e32 v1, v1, v6
	;; [unrolled: 2-line block ×7, first 2 shown]
	v_or_b32_e32 v4, 0xfc, v3
	s_nop 0
	v_add_f32_dpp v1, v1, v1 quad_perm:[1,0,3,2] row_mask:0xf bank_mask:0xf bound_ctrl:1
	s_nop 1
	v_add_f32_dpp v1, v1, v1 quad_perm:[2,3,0,1] row_mask:0xf bank_mask:0xf bound_ctrl:1
	s_nop 1
	v_add_f32_dpp v1, v1, v1 row_ror:4 row_mask:0xf bank_mask:0xf bound_ctrl:1
	s_nop 1
	v_add_f32_dpp v1, v1, v1 row_ror:8 row_mask:0xf bank_mask:0xf bound_ctrl:1
	s_nop 1
	v_add_f32_dpp v1, v1, v1 row_bcast:15 row_mask:0xf bank_mask:0xf bound_ctrl:1
	s_nop 1
	v_add_f32_dpp v1, v1, v1 row_bcast:31 row_mask:0xf bank_mask:0xf bound_ctrl:1
	ds_bpermute_b32 v1, v4, v1
	s_and_saveexec_b64 s[2:3], vcc
	s_cbranch_execz .LBB11_138
; %bb.137:
	v_lshrrev_b32_e32 v4, 4, v0
	v_and_b32_e32 v4, 4, v4
	s_waitcnt lgkmcnt(0)
	ds_write_b32 v4, v1 offset:40
.LBB11_138:
	s_or_b64 exec, exec, s[2:3]
	v_cmp_gt_u32_e32 vcc, 64, v0
	s_waitcnt lgkmcnt(0)
	s_barrier
	s_and_saveexec_b64 s[2:3], vcc
	s_cbranch_execz .LBB11_140
; %bb.139:
	v_and_b32_e32 v1, 1, v2
	v_lshlrev_b32_e32 v1, 2, v1
	ds_read_b32 v1, v1 offset:40
	v_or_b32_e32 v2, 4, v3
	s_waitcnt lgkmcnt(0)
	ds_bpermute_b32 v2, v2, v1
	s_waitcnt lgkmcnt(0)
	v_add_f32_e32 v1, v1, v2
.LBB11_140:
	s_or_b64 exec, exec, s[2:3]
	s_branch .LBB11_165
.LBB11_141:
                                        ; implicit-def: $vgpr1
.LBB11_142:
	s_branch .LBB11_224
.LBB11_143:
                                        ; implicit-def: $vgpr1
	s_cbranch_execz .LBB11_165
; %bb.144:
	s_sub_i32 s20, s70, s0
	v_cmp_gt_u32_e32 vcc, s20, v0
                                        ; implicit-def: $vgpr2_vgpr3_vgpr4_vgpr5_vgpr6_vgpr7_vgpr8_vgpr9
	s_and_saveexec_b64 s[0:1], vcc
	s_cbranch_execz .LBB11_146
; %bb.145:
	v_lshlrev_b32_e32 v1, 2, v0
	global_load_dword v2, v1, s[16:17]
.LBB11_146:
	s_or_b64 exec, exec, s[0:1]
	v_or_b32_e32 v1, 0x80, v0
	v_cmp_gt_u32_e32 vcc, s20, v1
	s_and_saveexec_b64 s[0:1], vcc
	s_cbranch_execz .LBB11_148
; %bb.147:
	v_lshlrev_b32_e32 v1, 2, v0
	global_load_dword v3, v1, s[16:17] offset:512
.LBB11_148:
	s_or_b64 exec, exec, s[0:1]
	v_or_b32_e32 v1, 0x100, v0
	v_cmp_gt_u32_e64 s[0:1], s20, v1
	s_and_saveexec_b64 s[2:3], s[0:1]
	s_cbranch_execz .LBB11_150
; %bb.149:
	v_lshlrev_b32_e32 v1, 2, v0
	global_load_dword v4, v1, s[16:17] offset:1024
.LBB11_150:
	s_or_b64 exec, exec, s[2:3]
	v_or_b32_e32 v1, 0x180, v0
	v_cmp_gt_u32_e64 s[2:3], s20, v1
	s_and_saveexec_b64 s[8:9], s[2:3]
	;; [unrolled: 9-line block ×6, first 2 shown]
	s_cbranch_execz .LBB11_160
; %bb.159:
	v_lshlrev_b32_e32 v1, 2, v0
	global_load_dword v9, v1, s[16:17] offset:3584
.LBB11_160:
	s_or_b64 exec, exec, s[18:19]
	s_waitcnt vmcnt(0)
	v_add_f32_e32 v1, v2, v3
	v_cndmask_b32_e32 v1, v2, v1, vcc
	v_add_f32_e32 v2, v4, v1
	v_cndmask_b32_e64 v1, v1, v2, s[0:1]
	v_add_f32_e32 v2, v5, v1
	v_cndmask_b32_e64 v1, v1, v2, s[2:3]
	;; [unrolled: 2-line block ×6, first 2 shown]
	v_mbcnt_lo_u32_b32 v2, -1, 0
	v_mbcnt_hi_u32_b32 v2, -1, v2
	v_and_b32_e32 v3, 63, v2
	v_cmp_ne_u32_e32 vcc, 63, v3
	v_addc_co_u32_e32 v4, vcc, 0, v2, vcc
	v_lshlrev_b32_e32 v4, 2, v4
	ds_bpermute_b32 v4, v4, v1
	s_min_u32 s2, s20, 0x80
	v_and_b32_e32 v5, 64, v0
	v_sub_u32_e64 v5, s2, v5 clamp
	v_add_u32_e32 v6, 1, v3
	v_cmp_gt_u32_e64 s[0:1], 62, v3
	v_cmp_lt_u32_e32 vcc, v6, v5
	v_cndmask_b32_e64 v6, 0, 1, s[0:1]
	s_waitcnt lgkmcnt(0)
	v_add_f32_e32 v4, v1, v4
	v_lshlrev_b32_e32 v6, 1, v6
	v_cndmask_b32_e32 v4, v1, v4, vcc
	v_add_lshl_u32 v6, v6, v2, 2
	ds_bpermute_b32 v6, v6, v4
	v_add_u32_e32 v7, 2, v3
	v_cmp_lt_u32_e64 s[0:1], v7, v5
	v_add_u32_e32 v7, 4, v3
	s_waitcnt lgkmcnt(0)
	v_add_f32_e32 v6, v4, v6
	v_cndmask_b32_e64 v4, v4, v6, s[0:1]
	v_cmp_gt_u32_e64 s[0:1], 60, v3
	v_cndmask_b32_e64 v6, 0, 1, s[0:1]
	v_lshlrev_b32_e32 v6, 2, v6
	v_add_lshl_u32 v6, v6, v2, 2
	ds_bpermute_b32 v6, v6, v4
	v_cmp_lt_u32_e64 s[0:1], v7, v5
	v_add_u32_e32 v7, 8, v3
	s_waitcnt lgkmcnt(0)
	v_add_f32_e32 v6, v4, v6
	v_cndmask_b32_e64 v4, v4, v6, s[0:1]
	v_cmp_gt_u32_e64 s[0:1], 56, v3
	v_cndmask_b32_e64 v6, 0, 1, s[0:1]
	v_lshlrev_b32_e32 v6, 3, v6
	v_add_lshl_u32 v6, v6, v2, 2
	ds_bpermute_b32 v6, v6, v4
	;; [unrolled: 10-line block ×3, first 2 shown]
	v_cmp_lt_u32_e64 s[0:1], v7, v5
	s_waitcnt lgkmcnt(0)
	v_add_f32_e32 v6, v4, v6
	v_cndmask_b32_e64 v4, v4, v6, s[0:1]
	v_cmp_gt_u32_e64 s[0:1], 32, v3
	v_cndmask_b32_e64 v6, 0, 1, s[0:1]
	v_lshlrev_b32_e32 v6, 5, v6
	v_add_lshl_u32 v6, v6, v2, 2
	ds_bpermute_b32 v6, v6, v4
	v_add_u32_e32 v3, 32, v3
	v_cmp_lt_u32_e64 s[0:1], v3, v5
	s_waitcnt lgkmcnt(0)
	v_add_f32_e32 v6, v4, v6
	v_cndmask_b32_e64 v3, v4, v6, s[0:1]
	v_cndmask_b32_e32 v1, v1, v3, vcc
	v_cmp_eq_u32_e32 vcc, 0, v2
	s_and_saveexec_b64 s[0:1], vcc
	s_cbranch_execz .LBB11_162
; %bb.161:
	v_lshrrev_b32_e32 v3, 4, v0
	v_and_b32_e32 v3, 4, v3
	ds_write_b32 v3, v1 offset:48
.LBB11_162:
	s_or_b64 exec, exec, s[0:1]
	v_cmp_gt_u32_e32 vcc, 2, v0
	s_waitcnt lgkmcnt(0)
	s_barrier
	s_and_saveexec_b64 s[0:1], vcc
	s_cbranch_execz .LBB11_164
; %bb.163:
	v_lshlrev_b32_e32 v1, 2, v2
	ds_read_b32 v3, v1 offset:48
	v_or_b32_e32 v1, 4, v1
	s_add_i32 s2, s2, 63
	v_and_b32_e32 v2, 1, v2
	s_lshr_b32 s2, s2, 6
	s_waitcnt lgkmcnt(0)
	ds_bpermute_b32 v1, v1, v3
	v_add_u32_e32 v2, 1, v2
	v_cmp_gt_u32_e32 vcc, s2, v2
	s_waitcnt lgkmcnt(0)
	v_add_f32_e32 v1, v3, v1
	v_cndmask_b32_e32 v1, v3, v1, vcc
.LBB11_164:
	s_or_b64 exec, exec, s[0:1]
.LBB11_165:
	v_cmp_eq_u32_e64 s[0:1], 0, v0
	s_branch .LBB11_224
.LBB11_166:
	s_cmp_gt_i32 s33, 1
	s_cbranch_scc0 .LBB11_175
; %bb.167:
	s_cmp_gt_i32 s33, 3
	s_cbranch_scc0 .LBB11_176
; %bb.168:
	s_cmp_eq_u32 s33, 4
	s_cbranch_scc0 .LBB11_177
; %bb.169:
	s_mov_b32 s7, 0
	s_lshl_b32 s0, s6, 9
	s_mov_b32 s1, s7
	s_lshr_b64 s[2:3], s[70:71], 9
	s_lshl_b64 s[8:9], s[0:1], 2
	s_add_u32 s8, s68, s8
	s_addc_u32 s9, s69, s9
	s_cmp_lg_u64 s[2:3], s[6:7]
	s_cbranch_scc0 .LBB11_179
; %bb.170:
	v_lshlrev_b32_e32 v1, 2, v0
	global_load_dword v4, v1, s[8:9]
	global_load_dword v5, v1, s[8:9] offset:512
	global_load_dword v6, v1, s[8:9] offset:1024
	;; [unrolled: 1-line block ×3, first 2 shown]
	v_mbcnt_lo_u32_b32 v1, -1, 0
	v_mbcnt_hi_u32_b32 v2, -1, v1
	v_lshlrev_b32_e32 v3, 2, v2
	v_cmp_eq_u32_e32 vcc, 0, v2
	s_waitcnt vmcnt(2)
	v_add_f32_e32 v1, v4, v5
	s_waitcnt vmcnt(1)
	v_add_f32_e32 v1, v1, v6
	;; [unrolled: 2-line block ×3, first 2 shown]
	v_or_b32_e32 v4, 0xfc, v3
	s_nop 0
	v_add_f32_dpp v1, v1, v1 quad_perm:[1,0,3,2] row_mask:0xf bank_mask:0xf bound_ctrl:1
	s_nop 1
	v_add_f32_dpp v1, v1, v1 quad_perm:[2,3,0,1] row_mask:0xf bank_mask:0xf bound_ctrl:1
	s_nop 1
	v_add_f32_dpp v1, v1, v1 row_ror:4 row_mask:0xf bank_mask:0xf bound_ctrl:1
	s_nop 1
	v_add_f32_dpp v1, v1, v1 row_ror:8 row_mask:0xf bank_mask:0xf bound_ctrl:1
	s_nop 1
	v_add_f32_dpp v1, v1, v1 row_bcast:15 row_mask:0xf bank_mask:0xf bound_ctrl:1
	s_nop 1
	v_add_f32_dpp v1, v1, v1 row_bcast:31 row_mask:0xf bank_mask:0xf bound_ctrl:1
	ds_bpermute_b32 v1, v4, v1
	s_and_saveexec_b64 s[2:3], vcc
	s_cbranch_execz .LBB11_172
; %bb.171:
	v_lshrrev_b32_e32 v4, 4, v0
	v_and_b32_e32 v4, 4, v4
	s_waitcnt lgkmcnt(0)
	ds_write_b32 v4, v1 offset:32
.LBB11_172:
	s_or_b64 exec, exec, s[2:3]
	v_cmp_gt_u32_e32 vcc, 64, v0
	s_waitcnt lgkmcnt(0)
	s_barrier
	s_and_saveexec_b64 s[2:3], vcc
	s_cbranch_execz .LBB11_174
; %bb.173:
	v_and_b32_e32 v1, 1, v2
	v_lshlrev_b32_e32 v1, 2, v1
	ds_read_b32 v1, v1 offset:32
	v_or_b32_e32 v2, 4, v3
	s_waitcnt lgkmcnt(0)
	ds_bpermute_b32 v2, v2, v1
	s_waitcnt lgkmcnt(0)
	v_add_f32_e32 v1, v1, v2
.LBB11_174:
	s_or_b64 exec, exec, s[2:3]
	s_mov_b64 s[2:3], 0
	s_branch .LBB11_180
.LBB11_175:
                                        ; implicit-def: $vgpr1
	s_cbranch_execnz .LBB11_215
	s_branch .LBB11_224
.LBB11_176:
                                        ; implicit-def: $vgpr1
	s_cbranch_execz .LBB11_178
	s_branch .LBB11_195
.LBB11_177:
                                        ; implicit-def: $vgpr1
.LBB11_178:
	s_branch .LBB11_224
.LBB11_179:
	s_mov_b64 s[2:3], -1
                                        ; implicit-def: $vgpr1
.LBB11_180:
	s_and_b64 vcc, exec, s[2:3]
	s_cbranch_vccz .LBB11_194
; %bb.181:
	s_sub_i32 s12, s70, s0
	v_cmp_gt_u32_e32 vcc, s12, v0
                                        ; implicit-def: $vgpr2_vgpr3_vgpr4_vgpr5
	s_and_saveexec_b64 s[0:1], vcc
	s_cbranch_execz .LBB11_183
; %bb.182:
	v_lshlrev_b32_e32 v1, 2, v0
	global_load_dword v2, v1, s[8:9]
.LBB11_183:
	s_or_b64 exec, exec, s[0:1]
	v_or_b32_e32 v1, 0x80, v0
	v_cmp_gt_u32_e32 vcc, s12, v1
	s_and_saveexec_b64 s[0:1], vcc
	s_cbranch_execz .LBB11_185
; %bb.184:
	v_lshlrev_b32_e32 v1, 2, v0
	global_load_dword v3, v1, s[8:9] offset:512
.LBB11_185:
	s_or_b64 exec, exec, s[0:1]
	v_or_b32_e32 v1, 0x100, v0
	v_cmp_gt_u32_e64 s[0:1], s12, v1
	s_and_saveexec_b64 s[2:3], s[0:1]
	s_cbranch_execz .LBB11_187
; %bb.186:
	v_lshlrev_b32_e32 v1, 2, v0
	global_load_dword v4, v1, s[8:9] offset:1024
.LBB11_187:
	s_or_b64 exec, exec, s[2:3]
	v_or_b32_e32 v1, 0x180, v0
	v_cmp_gt_u32_e64 s[2:3], s12, v1
	s_and_saveexec_b64 s[10:11], s[2:3]
	s_cbranch_execz .LBB11_189
; %bb.188:
	v_lshlrev_b32_e32 v1, 2, v0
	global_load_dword v5, v1, s[8:9] offset:1536
.LBB11_189:
	s_or_b64 exec, exec, s[10:11]
	s_waitcnt vmcnt(0)
	v_add_f32_e32 v1, v2, v3
	v_cndmask_b32_e32 v1, v2, v1, vcc
	v_add_f32_e32 v2, v4, v1
	v_cndmask_b32_e64 v1, v1, v2, s[0:1]
	v_add_f32_e32 v2, v5, v1
	v_cndmask_b32_e64 v1, v1, v2, s[2:3]
	v_mbcnt_lo_u32_b32 v2, -1, 0
	v_mbcnt_hi_u32_b32 v2, -1, v2
	v_and_b32_e32 v3, 63, v2
	v_cmp_ne_u32_e32 vcc, 63, v3
	v_addc_co_u32_e32 v4, vcc, 0, v2, vcc
	v_lshlrev_b32_e32 v4, 2, v4
	ds_bpermute_b32 v4, v4, v1
	s_min_u32 s2, s12, 0x80
	v_and_b32_e32 v5, 64, v0
	v_sub_u32_e64 v5, s2, v5 clamp
	v_add_u32_e32 v6, 1, v3
	v_cmp_gt_u32_e64 s[0:1], 62, v3
	v_cmp_lt_u32_e32 vcc, v6, v5
	v_cndmask_b32_e64 v6, 0, 1, s[0:1]
	s_waitcnt lgkmcnt(0)
	v_add_f32_e32 v4, v1, v4
	v_lshlrev_b32_e32 v6, 1, v6
	v_cndmask_b32_e32 v4, v1, v4, vcc
	v_add_lshl_u32 v6, v6, v2, 2
	ds_bpermute_b32 v6, v6, v4
	v_add_u32_e32 v7, 2, v3
	v_cmp_lt_u32_e64 s[0:1], v7, v5
	v_add_u32_e32 v7, 4, v3
	s_waitcnt lgkmcnt(0)
	v_add_f32_e32 v6, v4, v6
	v_cndmask_b32_e64 v4, v4, v6, s[0:1]
	v_cmp_gt_u32_e64 s[0:1], 60, v3
	v_cndmask_b32_e64 v6, 0, 1, s[0:1]
	v_lshlrev_b32_e32 v6, 2, v6
	v_add_lshl_u32 v6, v6, v2, 2
	ds_bpermute_b32 v6, v6, v4
	v_cmp_lt_u32_e64 s[0:1], v7, v5
	v_add_u32_e32 v7, 8, v3
	s_waitcnt lgkmcnt(0)
	v_add_f32_e32 v6, v4, v6
	v_cndmask_b32_e64 v4, v4, v6, s[0:1]
	v_cmp_gt_u32_e64 s[0:1], 56, v3
	v_cndmask_b32_e64 v6, 0, 1, s[0:1]
	v_lshlrev_b32_e32 v6, 3, v6
	v_add_lshl_u32 v6, v6, v2, 2
	ds_bpermute_b32 v6, v6, v4
	;; [unrolled: 10-line block ×3, first 2 shown]
	v_cmp_lt_u32_e64 s[0:1], v7, v5
	s_waitcnt lgkmcnt(0)
	v_add_f32_e32 v6, v4, v6
	v_cndmask_b32_e64 v4, v4, v6, s[0:1]
	v_cmp_gt_u32_e64 s[0:1], 32, v3
	v_cndmask_b32_e64 v6, 0, 1, s[0:1]
	v_lshlrev_b32_e32 v6, 5, v6
	v_add_lshl_u32 v6, v6, v2, 2
	ds_bpermute_b32 v6, v6, v4
	v_add_u32_e32 v3, 32, v3
	v_cmp_lt_u32_e64 s[0:1], v3, v5
	s_waitcnt lgkmcnt(0)
	v_add_f32_e32 v6, v4, v6
	v_cndmask_b32_e64 v3, v4, v6, s[0:1]
	v_cndmask_b32_e32 v1, v1, v3, vcc
	v_cmp_eq_u32_e32 vcc, 0, v2
	s_and_saveexec_b64 s[0:1], vcc
	s_cbranch_execz .LBB11_191
; %bb.190:
	v_lshrrev_b32_e32 v3, 4, v0
	v_and_b32_e32 v3, 4, v3
	ds_write_b32 v3, v1 offset:48
.LBB11_191:
	s_or_b64 exec, exec, s[0:1]
	v_cmp_gt_u32_e32 vcc, 2, v0
	s_waitcnt lgkmcnt(0)
	s_barrier
	s_and_saveexec_b64 s[0:1], vcc
	s_cbranch_execz .LBB11_193
; %bb.192:
	v_lshlrev_b32_e32 v1, 2, v2
	ds_read_b32 v3, v1 offset:48
	v_or_b32_e32 v1, 4, v1
	s_add_i32 s2, s2, 63
	v_and_b32_e32 v2, 1, v2
	s_lshr_b32 s2, s2, 6
	s_waitcnt lgkmcnt(0)
	ds_bpermute_b32 v1, v1, v3
	v_add_u32_e32 v2, 1, v2
	v_cmp_gt_u32_e32 vcc, s2, v2
	s_waitcnt lgkmcnt(0)
	v_add_f32_e32 v1, v3, v1
	v_cndmask_b32_e32 v1, v3, v1, vcc
.LBB11_193:
	s_or_b64 exec, exec, s[0:1]
.LBB11_194:
	v_cmp_eq_u32_e64 s[0:1], 0, v0
	s_branch .LBB11_178
.LBB11_195:
	s_cmp_eq_u32 s33, 2
	s_cbranch_scc0 .LBB11_202
; %bb.196:
	s_mov_b32 s7, 0
	s_lshl_b32 s2, s6, 8
	s_mov_b32 s3, s7
	s_lshr_b64 s[8:9], s[70:71], 8
	s_lshl_b64 s[0:1], s[2:3], 2
	s_add_u32 s0, s68, s0
	s_addc_u32 s1, s69, s1
	s_cmp_lg_u64 s[8:9], s[6:7]
	s_cbranch_scc0 .LBB11_203
; %bb.197:
	v_lshlrev_b32_e32 v1, 2, v0
	global_load_dword v4, v1, s[0:1]
	global_load_dword v5, v1, s[0:1] offset:512
	v_mbcnt_lo_u32_b32 v1, -1, 0
	v_mbcnt_hi_u32_b32 v2, -1, v1
	v_lshlrev_b32_e32 v3, 2, v2
	v_cmp_eq_u32_e32 vcc, 0, v2
	s_waitcnt vmcnt(0)
	v_add_f32_e32 v1, v4, v5
	s_nop 1
	v_add_f32_dpp v1, v1, v1 quad_perm:[1,0,3,2] row_mask:0xf bank_mask:0xf bound_ctrl:1
	v_or_b32_e32 v4, 0xfc, v3
	s_nop 0
	v_add_f32_dpp v1, v1, v1 quad_perm:[2,3,0,1] row_mask:0xf bank_mask:0xf bound_ctrl:1
	s_nop 1
	v_add_f32_dpp v1, v1, v1 row_ror:4 row_mask:0xf bank_mask:0xf bound_ctrl:1
	s_nop 1
	v_add_f32_dpp v1, v1, v1 row_ror:8 row_mask:0xf bank_mask:0xf bound_ctrl:1
	s_nop 1
	v_add_f32_dpp v1, v1, v1 row_bcast:15 row_mask:0xf bank_mask:0xf bound_ctrl:1
	s_nop 1
	v_add_f32_dpp v1, v1, v1 row_bcast:31 row_mask:0xf bank_mask:0xf bound_ctrl:1
	ds_bpermute_b32 v1, v4, v1
	s_and_saveexec_b64 s[8:9], vcc
	s_cbranch_execz .LBB11_199
; %bb.198:
	v_lshrrev_b32_e32 v4, 4, v0
	v_and_b32_e32 v4, 4, v4
	s_waitcnt lgkmcnt(0)
	ds_write_b32 v4, v1 offset:16
.LBB11_199:
	s_or_b64 exec, exec, s[8:9]
	v_cmp_gt_u32_e32 vcc, 64, v0
	s_waitcnt lgkmcnt(0)
	s_barrier
	s_and_saveexec_b64 s[8:9], vcc
	s_cbranch_execz .LBB11_201
; %bb.200:
	v_and_b32_e32 v1, 1, v2
	v_lshlrev_b32_e32 v1, 2, v1
	ds_read_b32 v1, v1 offset:16
	v_or_b32_e32 v2, 4, v3
	s_waitcnt lgkmcnt(0)
	ds_bpermute_b32 v2, v2, v1
	s_waitcnt lgkmcnt(0)
	v_add_f32_e32 v1, v1, v2
.LBB11_201:
	s_or_b64 exec, exec, s[8:9]
	s_mov_b64 s[8:9], 0
	s_branch .LBB11_204
.LBB11_202:
                                        ; implicit-def: $vgpr1
	s_branch .LBB11_224
.LBB11_203:
	s_mov_b64 s[8:9], -1
                                        ; implicit-def: $vgpr1
.LBB11_204:
	s_and_b64 vcc, exec, s[8:9]
	s_cbranch_vccz .LBB11_214
; %bb.205:
	s_sub_i32 s8, s70, s2
	v_cmp_gt_u32_e32 vcc, s8, v0
                                        ; implicit-def: $vgpr2_vgpr3
	s_and_saveexec_b64 s[2:3], vcc
	s_cbranch_execz .LBB11_207
; %bb.206:
	v_lshlrev_b32_e32 v1, 2, v0
	global_load_dword v2, v1, s[0:1]
.LBB11_207:
	s_or_b64 exec, exec, s[2:3]
	v_or_b32_e32 v1, 0x80, v0
	v_cmp_gt_u32_e32 vcc, s8, v1
	s_and_saveexec_b64 s[2:3], vcc
	s_cbranch_execz .LBB11_209
; %bb.208:
	v_lshlrev_b32_e32 v1, 2, v0
	global_load_dword v3, v1, s[0:1] offset:512
.LBB11_209:
	s_or_b64 exec, exec, s[2:3]
	s_waitcnt vmcnt(0)
	v_add_f32_e32 v1, v2, v3
	v_cndmask_b32_e32 v1, v2, v1, vcc
	v_mbcnt_lo_u32_b32 v2, -1, 0
	v_mbcnt_hi_u32_b32 v2, -1, v2
	v_and_b32_e32 v3, 63, v2
	v_cmp_ne_u32_e32 vcc, 63, v3
	v_addc_co_u32_e32 v4, vcc, 0, v2, vcc
	v_lshlrev_b32_e32 v4, 2, v4
	ds_bpermute_b32 v4, v4, v1
	s_min_u32 s2, s8, 0x80
	v_and_b32_e32 v5, 64, v0
	v_sub_u32_e64 v5, s2, v5 clamp
	v_add_u32_e32 v6, 1, v3
	v_cmp_gt_u32_e64 s[0:1], 62, v3
	v_cmp_lt_u32_e32 vcc, v6, v5
	v_cndmask_b32_e64 v6, 0, 1, s[0:1]
	s_waitcnt lgkmcnt(0)
	v_add_f32_e32 v4, v1, v4
	v_lshlrev_b32_e32 v6, 1, v6
	v_cndmask_b32_e32 v4, v1, v4, vcc
	v_add_lshl_u32 v6, v6, v2, 2
	ds_bpermute_b32 v6, v6, v4
	v_add_u32_e32 v7, 2, v3
	v_cmp_lt_u32_e64 s[0:1], v7, v5
	v_add_u32_e32 v7, 4, v3
	s_waitcnt lgkmcnt(0)
	v_add_f32_e32 v6, v4, v6
	v_cndmask_b32_e64 v4, v4, v6, s[0:1]
	v_cmp_gt_u32_e64 s[0:1], 60, v3
	v_cndmask_b32_e64 v6, 0, 1, s[0:1]
	v_lshlrev_b32_e32 v6, 2, v6
	v_add_lshl_u32 v6, v6, v2, 2
	ds_bpermute_b32 v6, v6, v4
	v_cmp_lt_u32_e64 s[0:1], v7, v5
	v_add_u32_e32 v7, 8, v3
	s_waitcnt lgkmcnt(0)
	v_add_f32_e32 v6, v4, v6
	v_cndmask_b32_e64 v4, v4, v6, s[0:1]
	v_cmp_gt_u32_e64 s[0:1], 56, v3
	v_cndmask_b32_e64 v6, 0, 1, s[0:1]
	v_lshlrev_b32_e32 v6, 3, v6
	v_add_lshl_u32 v6, v6, v2, 2
	ds_bpermute_b32 v6, v6, v4
	;; [unrolled: 10-line block ×3, first 2 shown]
	v_cmp_lt_u32_e64 s[0:1], v7, v5
	s_waitcnt lgkmcnt(0)
	v_add_f32_e32 v6, v4, v6
	v_cndmask_b32_e64 v4, v4, v6, s[0:1]
	v_cmp_gt_u32_e64 s[0:1], 32, v3
	v_cndmask_b32_e64 v6, 0, 1, s[0:1]
	v_lshlrev_b32_e32 v6, 5, v6
	v_add_lshl_u32 v6, v6, v2, 2
	ds_bpermute_b32 v6, v6, v4
	v_add_u32_e32 v3, 32, v3
	v_cmp_lt_u32_e64 s[0:1], v3, v5
	s_waitcnt lgkmcnt(0)
	v_add_f32_e32 v6, v4, v6
	v_cndmask_b32_e64 v3, v4, v6, s[0:1]
	v_cndmask_b32_e32 v1, v1, v3, vcc
	v_cmp_eq_u32_e32 vcc, 0, v2
	s_and_saveexec_b64 s[0:1], vcc
	s_cbranch_execz .LBB11_211
; %bb.210:
	v_lshrrev_b32_e32 v3, 4, v0
	v_and_b32_e32 v3, 4, v3
	ds_write_b32 v3, v1 offset:48
.LBB11_211:
	s_or_b64 exec, exec, s[0:1]
	v_cmp_gt_u32_e32 vcc, 2, v0
	s_waitcnt lgkmcnt(0)
	s_barrier
	s_and_saveexec_b64 s[0:1], vcc
	s_cbranch_execz .LBB11_213
; %bb.212:
	v_lshlrev_b32_e32 v1, 2, v2
	ds_read_b32 v3, v1 offset:48
	v_or_b32_e32 v1, 4, v1
	s_add_i32 s2, s2, 63
	v_and_b32_e32 v2, 1, v2
	s_lshr_b32 s2, s2, 6
	s_waitcnt lgkmcnt(0)
	ds_bpermute_b32 v1, v1, v3
	v_add_u32_e32 v2, 1, v2
	v_cmp_gt_u32_e32 vcc, s2, v2
	s_waitcnt lgkmcnt(0)
	v_add_f32_e32 v1, v3, v1
	v_cndmask_b32_e32 v1, v3, v1, vcc
.LBB11_213:
	s_or_b64 exec, exec, s[0:1]
.LBB11_214:
	v_cmp_eq_u32_e64 s[0:1], 0, v0
	s_branch .LBB11_224
.LBB11_215:
	s_cmp_eq_u32 s33, 1
	s_cbranch_scc0 .LBB11_223
; %bb.216:
	s_mov_b32 s1, 0
	s_lshl_b32 s0, s6, 7
	s_mov_b32 s7, s1
	s_lshr_b64 s[2:3], s[70:71], 7
	s_cmp_lg_u64 s[2:3], s[6:7]
	v_mbcnt_lo_u32_b32 v2, -1, 0
	s_cbranch_scc0 .LBB11_227
; %bb.217:
	s_lshl_b64 s[2:3], s[0:1], 2
	s_add_u32 s2, s68, s2
	s_addc_u32 s3, s69, s3
	v_lshlrev_b32_e32 v1, 2, v0
	global_load_dword v1, v1, s[2:3]
	v_mbcnt_hi_u32_b32 v3, -1, v2
	v_lshlrev_b32_e32 v4, 2, v3
	v_or_b32_e32 v5, 0xfc, v4
	v_cmp_eq_u32_e32 vcc, 0, v3
	s_waitcnt vmcnt(0)
	v_add_f32_dpp v1, v1, v1 quad_perm:[1,0,3,2] row_mask:0xf bank_mask:0xf bound_ctrl:1
	s_nop 1
	v_add_f32_dpp v1, v1, v1 quad_perm:[2,3,0,1] row_mask:0xf bank_mask:0xf bound_ctrl:1
	s_nop 1
	v_add_f32_dpp v1, v1, v1 row_ror:4 row_mask:0xf bank_mask:0xf bound_ctrl:1
	s_nop 1
	v_add_f32_dpp v1, v1, v1 row_ror:8 row_mask:0xf bank_mask:0xf bound_ctrl:1
	s_nop 1
	v_add_f32_dpp v1, v1, v1 row_bcast:15 row_mask:0xf bank_mask:0xf bound_ctrl:1
	s_nop 1
	v_add_f32_dpp v1, v1, v1 row_bcast:31 row_mask:0xf bank_mask:0xf bound_ctrl:1
	ds_bpermute_b32 v1, v5, v1
	s_and_saveexec_b64 s[2:3], vcc
	s_cbranch_execz .LBB11_219
; %bb.218:
	v_lshrrev_b32_e32 v5, 4, v0
	v_and_b32_e32 v5, 4, v5
	s_waitcnt lgkmcnt(0)
	ds_write_b32 v5, v1 offset:8
.LBB11_219:
	s_or_b64 exec, exec, s[2:3]
	v_cmp_gt_u32_e32 vcc, 64, v0
	s_waitcnt lgkmcnt(0)
	s_barrier
	s_and_saveexec_b64 s[2:3], vcc
	s_cbranch_execz .LBB11_221
; %bb.220:
	v_and_b32_e32 v1, 1, v3
	v_lshlrev_b32_e32 v1, 2, v1
	ds_read_b32 v1, v1 offset:8
	v_or_b32_e32 v3, 4, v4
	s_waitcnt lgkmcnt(0)
	ds_bpermute_b32 v3, v3, v1
	s_waitcnt lgkmcnt(0)
	v_add_f32_e32 v1, v1, v3
.LBB11_221:
	s_or_b64 exec, exec, s[2:3]
.LBB11_222:
	v_cmp_eq_u32_e64 s[0:1], 0, v0
	s_and_saveexec_b64 s[2:3], s[0:1]
	s_cbranch_execnz .LBB11_225
	s_branch .LBB11_226
.LBB11_223:
                                        ; implicit-def: $vgpr1
                                        ; implicit-def: $sgpr6_sgpr7
.LBB11_224:
	s_and_saveexec_b64 s[2:3], s[0:1]
	s_cbranch_execz .LBB11_226
.LBB11_225:
	s_load_dwordx2 s[0:1], s[4:5], 0x18
	s_load_dword s8, s[4:5], 0x20
	s_lshl_b64 s[2:3], s[6:7], 2
	v_mov_b32_e32 v0, 0
	s_waitcnt lgkmcnt(0)
	s_add_u32 s0, s0, s2
	s_addc_u32 s1, s1, s3
	s_cmp_eq_u64 s[70:71], 0
	v_add_f32_e32 v1, s8, v1
	v_mov_b32_e32 v2, s8
	s_cselect_b64 vcc, -1, 0
	v_cndmask_b32_e32 v1, v1, v2, vcc
	global_store_dword v0, v1, s[0:1]
.LBB11_226:
	s_endpgm
.LBB11_227:
                                        ; implicit-def: $vgpr1
	s_cbranch_execz .LBB11_222
; %bb.228:
	s_sub_i32 s8, s70, s0
	v_cmp_gt_u32_e32 vcc, s8, v0
                                        ; implicit-def: $vgpr1
	s_and_saveexec_b64 s[2:3], vcc
	s_cbranch_execz .LBB11_230
; %bb.229:
	s_lshl_b64 s[0:1], s[0:1], 2
	s_add_u32 s0, s68, s0
	s_addc_u32 s1, s69, s1
	v_lshlrev_b32_e32 v1, 2, v0
	global_load_dword v1, v1, s[0:1]
.LBB11_230:
	s_or_b64 exec, exec, s[2:3]
	v_mbcnt_hi_u32_b32 v2, -1, v2
	v_and_b32_e32 v3, 63, v2
	v_cmp_ne_u32_e32 vcc, 63, v3
	v_addc_co_u32_e32 v4, vcc, 0, v2, vcc
	v_lshlrev_b32_e32 v4, 2, v4
	s_waitcnt vmcnt(0)
	ds_bpermute_b32 v4, v4, v1
	s_min_u32 s2, s8, 0x80
	v_and_b32_e32 v5, 64, v0
	v_sub_u32_e64 v5, s2, v5 clamp
	v_add_u32_e32 v6, 1, v3
	v_cmp_gt_u32_e64 s[0:1], 62, v3
	v_cmp_lt_u32_e32 vcc, v6, v5
	v_cndmask_b32_e64 v6, 0, 1, s[0:1]
	s_waitcnt lgkmcnt(0)
	v_add_f32_e32 v4, v1, v4
	v_lshlrev_b32_e32 v6, 1, v6
	v_cndmask_b32_e32 v4, v1, v4, vcc
	v_add_lshl_u32 v6, v6, v2, 2
	ds_bpermute_b32 v6, v6, v4
	v_add_u32_e32 v7, 2, v3
	v_cmp_lt_u32_e64 s[0:1], v7, v5
	v_add_u32_e32 v7, 4, v3
	s_waitcnt lgkmcnt(0)
	v_add_f32_e32 v6, v4, v6
	v_cndmask_b32_e64 v4, v4, v6, s[0:1]
	v_cmp_gt_u32_e64 s[0:1], 60, v3
	v_cndmask_b32_e64 v6, 0, 1, s[0:1]
	v_lshlrev_b32_e32 v6, 2, v6
	v_add_lshl_u32 v6, v6, v2, 2
	ds_bpermute_b32 v6, v6, v4
	v_cmp_lt_u32_e64 s[0:1], v7, v5
	v_add_u32_e32 v7, 8, v3
	s_waitcnt lgkmcnt(0)
	v_add_f32_e32 v6, v4, v6
	v_cndmask_b32_e64 v4, v4, v6, s[0:1]
	v_cmp_gt_u32_e64 s[0:1], 56, v3
	v_cndmask_b32_e64 v6, 0, 1, s[0:1]
	v_lshlrev_b32_e32 v6, 3, v6
	v_add_lshl_u32 v6, v6, v2, 2
	ds_bpermute_b32 v6, v6, v4
	;; [unrolled: 10-line block ×3, first 2 shown]
	v_cmp_lt_u32_e64 s[0:1], v7, v5
	s_waitcnt lgkmcnt(0)
	v_add_f32_e32 v6, v4, v6
	v_cndmask_b32_e64 v4, v4, v6, s[0:1]
	v_cmp_gt_u32_e64 s[0:1], 32, v3
	v_cndmask_b32_e64 v6, 0, 1, s[0:1]
	v_lshlrev_b32_e32 v6, 5, v6
	v_add_lshl_u32 v6, v6, v2, 2
	ds_bpermute_b32 v6, v6, v4
	v_add_u32_e32 v3, 32, v3
	v_cmp_lt_u32_e64 s[0:1], v3, v5
	s_waitcnt lgkmcnt(0)
	v_add_f32_e32 v6, v4, v6
	v_cndmask_b32_e64 v3, v4, v6, s[0:1]
	v_cndmask_b32_e32 v1, v1, v3, vcc
	v_cmp_eq_u32_e32 vcc, 0, v2
	s_and_saveexec_b64 s[0:1], vcc
	s_cbranch_execz .LBB11_232
; %bb.231:
	v_lshrrev_b32_e32 v3, 4, v0
	v_and_b32_e32 v3, 4, v3
	ds_write_b32 v3, v1 offset:48
.LBB11_232:
	s_or_b64 exec, exec, s[0:1]
	v_cmp_gt_u32_e32 vcc, 2, v0
	s_waitcnt lgkmcnt(0)
	s_barrier
	s_and_saveexec_b64 s[0:1], vcc
	s_cbranch_execz .LBB11_234
; %bb.233:
	v_lshlrev_b32_e32 v1, 2, v2
	ds_read_b32 v3, v1 offset:48
	v_or_b32_e32 v1, 4, v1
	s_add_i32 s2, s2, 63
	v_and_b32_e32 v2, 1, v2
	s_lshr_b32 s2, s2, 6
	s_waitcnt lgkmcnt(0)
	ds_bpermute_b32 v1, v1, v3
	v_add_u32_e32 v2, 1, v2
	v_cmp_gt_u32_e32 vcc, s2, v2
	s_waitcnt lgkmcnt(0)
	v_add_f32_e32 v1, v3, v1
	v_cndmask_b32_e32 v1, v3, v1, vcc
.LBB11_234:
	s_or_b64 exec, exec, s[0:1]
	v_cmp_eq_u32_e64 s[0:1], 0, v0
	s_and_saveexec_b64 s[2:3], s[0:1]
	s_cbranch_execnz .LBB11_225
	s_branch .LBB11_226
	.section	.rodata,"a",@progbits
	.p2align	6, 0x0
	.amdhsa_kernel _ZN7rocprim17ROCPRIM_400000_NS6detail17trampoline_kernelINS0_14default_configENS1_22reduce_config_selectorIfEEZNS1_11reduce_implILb1ES3_PfS7_fN6thrust23THRUST_200600_302600_NS4plusIfEEEE10hipError_tPvRmT1_T2_T3_mT4_P12ihipStream_tbEUlT_E1_NS1_11comp_targetILNS1_3genE4ELNS1_11target_archE910ELNS1_3gpuE8ELNS1_3repE0EEENS1_30default_config_static_selectorELNS0_4arch9wavefront6targetE1EEEvSF_
		.amdhsa_group_segment_fixed_size 56
		.amdhsa_private_segment_fixed_size 0
		.amdhsa_kernarg_size 40
		.amdhsa_user_sgpr_count 6
		.amdhsa_user_sgpr_private_segment_buffer 1
		.amdhsa_user_sgpr_dispatch_ptr 0
		.amdhsa_user_sgpr_queue_ptr 0
		.amdhsa_user_sgpr_kernarg_segment_ptr 1
		.amdhsa_user_sgpr_dispatch_id 0
		.amdhsa_user_sgpr_flat_scratch_init 0
		.amdhsa_user_sgpr_kernarg_preload_length 0
		.amdhsa_user_sgpr_kernarg_preload_offset 0
		.amdhsa_user_sgpr_private_segment_size 0
		.amdhsa_uses_dynamic_stack 0
		.amdhsa_system_sgpr_private_segment_wavefront_offset 0
		.amdhsa_system_sgpr_workgroup_id_x 1
		.amdhsa_system_sgpr_workgroup_id_y 0
		.amdhsa_system_sgpr_workgroup_id_z 0
		.amdhsa_system_sgpr_workgroup_info 0
		.amdhsa_system_vgpr_workitem_id 0
		.amdhsa_next_free_vgpr 35
		.amdhsa_next_free_sgpr 77
		.amdhsa_accum_offset 36
		.amdhsa_reserve_vcc 1
		.amdhsa_reserve_flat_scratch 0
		.amdhsa_float_round_mode_32 0
		.amdhsa_float_round_mode_16_64 0
		.amdhsa_float_denorm_mode_32 3
		.amdhsa_float_denorm_mode_16_64 3
		.amdhsa_dx10_clamp 1
		.amdhsa_ieee_mode 1
		.amdhsa_fp16_overflow 0
		.amdhsa_tg_split 0
		.amdhsa_exception_fp_ieee_invalid_op 0
		.amdhsa_exception_fp_denorm_src 0
		.amdhsa_exception_fp_ieee_div_zero 0
		.amdhsa_exception_fp_ieee_overflow 0
		.amdhsa_exception_fp_ieee_underflow 0
		.amdhsa_exception_fp_ieee_inexact 0
		.amdhsa_exception_int_div_zero 0
	.end_amdhsa_kernel
	.section	.text._ZN7rocprim17ROCPRIM_400000_NS6detail17trampoline_kernelINS0_14default_configENS1_22reduce_config_selectorIfEEZNS1_11reduce_implILb1ES3_PfS7_fN6thrust23THRUST_200600_302600_NS4plusIfEEEE10hipError_tPvRmT1_T2_T3_mT4_P12ihipStream_tbEUlT_E1_NS1_11comp_targetILNS1_3genE4ELNS1_11target_archE910ELNS1_3gpuE8ELNS1_3repE0EEENS1_30default_config_static_selectorELNS0_4arch9wavefront6targetE1EEEvSF_,"axG",@progbits,_ZN7rocprim17ROCPRIM_400000_NS6detail17trampoline_kernelINS0_14default_configENS1_22reduce_config_selectorIfEEZNS1_11reduce_implILb1ES3_PfS7_fN6thrust23THRUST_200600_302600_NS4plusIfEEEE10hipError_tPvRmT1_T2_T3_mT4_P12ihipStream_tbEUlT_E1_NS1_11comp_targetILNS1_3genE4ELNS1_11target_archE910ELNS1_3gpuE8ELNS1_3repE0EEENS1_30default_config_static_selectorELNS0_4arch9wavefront6targetE1EEEvSF_,comdat
.Lfunc_end11:
	.size	_ZN7rocprim17ROCPRIM_400000_NS6detail17trampoline_kernelINS0_14default_configENS1_22reduce_config_selectorIfEEZNS1_11reduce_implILb1ES3_PfS7_fN6thrust23THRUST_200600_302600_NS4plusIfEEEE10hipError_tPvRmT1_T2_T3_mT4_P12ihipStream_tbEUlT_E1_NS1_11comp_targetILNS1_3genE4ELNS1_11target_archE910ELNS1_3gpuE8ELNS1_3repE0EEENS1_30default_config_static_selectorELNS0_4arch9wavefront6targetE1EEEvSF_, .Lfunc_end11-_ZN7rocprim17ROCPRIM_400000_NS6detail17trampoline_kernelINS0_14default_configENS1_22reduce_config_selectorIfEEZNS1_11reduce_implILb1ES3_PfS7_fN6thrust23THRUST_200600_302600_NS4plusIfEEEE10hipError_tPvRmT1_T2_T3_mT4_P12ihipStream_tbEUlT_E1_NS1_11comp_targetILNS1_3genE4ELNS1_11target_archE910ELNS1_3gpuE8ELNS1_3repE0EEENS1_30default_config_static_selectorELNS0_4arch9wavefront6targetE1EEEvSF_
                                        ; -- End function
	.section	.AMDGPU.csdata,"",@progbits
; Kernel info:
; codeLenInByte = 9248
; NumSgprs: 81
; NumVgprs: 35
; NumAgprs: 0
; TotalNumVgprs: 35
; ScratchSize: 0
; MemoryBound: 0
; FloatMode: 240
; IeeeMode: 1
; LDSByteSize: 56 bytes/workgroup (compile time only)
; SGPRBlocks: 10
; VGPRBlocks: 4
; NumSGPRsForWavesPerEU: 81
; NumVGPRsForWavesPerEU: 35
; AccumOffset: 36
; Occupancy: 8
; WaveLimiterHint : 1
; COMPUTE_PGM_RSRC2:SCRATCH_EN: 0
; COMPUTE_PGM_RSRC2:USER_SGPR: 6
; COMPUTE_PGM_RSRC2:TRAP_HANDLER: 0
; COMPUTE_PGM_RSRC2:TGID_X_EN: 1
; COMPUTE_PGM_RSRC2:TGID_Y_EN: 0
; COMPUTE_PGM_RSRC2:TGID_Z_EN: 0
; COMPUTE_PGM_RSRC2:TIDIG_COMP_CNT: 0
; COMPUTE_PGM_RSRC3_GFX90A:ACCUM_OFFSET: 8
; COMPUTE_PGM_RSRC3_GFX90A:TG_SPLIT: 0
	.section	.text._ZN7rocprim17ROCPRIM_400000_NS6detail17trampoline_kernelINS0_14default_configENS1_22reduce_config_selectorIfEEZNS1_11reduce_implILb1ES3_PfS7_fN6thrust23THRUST_200600_302600_NS4plusIfEEEE10hipError_tPvRmT1_T2_T3_mT4_P12ihipStream_tbEUlT_E1_NS1_11comp_targetILNS1_3genE3ELNS1_11target_archE908ELNS1_3gpuE7ELNS1_3repE0EEENS1_30default_config_static_selectorELNS0_4arch9wavefront6targetE1EEEvSF_,"axG",@progbits,_ZN7rocprim17ROCPRIM_400000_NS6detail17trampoline_kernelINS0_14default_configENS1_22reduce_config_selectorIfEEZNS1_11reduce_implILb1ES3_PfS7_fN6thrust23THRUST_200600_302600_NS4plusIfEEEE10hipError_tPvRmT1_T2_T3_mT4_P12ihipStream_tbEUlT_E1_NS1_11comp_targetILNS1_3genE3ELNS1_11target_archE908ELNS1_3gpuE7ELNS1_3repE0EEENS1_30default_config_static_selectorELNS0_4arch9wavefront6targetE1EEEvSF_,comdat
	.protected	_ZN7rocprim17ROCPRIM_400000_NS6detail17trampoline_kernelINS0_14default_configENS1_22reduce_config_selectorIfEEZNS1_11reduce_implILb1ES3_PfS7_fN6thrust23THRUST_200600_302600_NS4plusIfEEEE10hipError_tPvRmT1_T2_T3_mT4_P12ihipStream_tbEUlT_E1_NS1_11comp_targetILNS1_3genE3ELNS1_11target_archE908ELNS1_3gpuE7ELNS1_3repE0EEENS1_30default_config_static_selectorELNS0_4arch9wavefront6targetE1EEEvSF_ ; -- Begin function _ZN7rocprim17ROCPRIM_400000_NS6detail17trampoline_kernelINS0_14default_configENS1_22reduce_config_selectorIfEEZNS1_11reduce_implILb1ES3_PfS7_fN6thrust23THRUST_200600_302600_NS4plusIfEEEE10hipError_tPvRmT1_T2_T3_mT4_P12ihipStream_tbEUlT_E1_NS1_11comp_targetILNS1_3genE3ELNS1_11target_archE908ELNS1_3gpuE7ELNS1_3repE0EEENS1_30default_config_static_selectorELNS0_4arch9wavefront6targetE1EEEvSF_
	.globl	_ZN7rocprim17ROCPRIM_400000_NS6detail17trampoline_kernelINS0_14default_configENS1_22reduce_config_selectorIfEEZNS1_11reduce_implILb1ES3_PfS7_fN6thrust23THRUST_200600_302600_NS4plusIfEEEE10hipError_tPvRmT1_T2_T3_mT4_P12ihipStream_tbEUlT_E1_NS1_11comp_targetILNS1_3genE3ELNS1_11target_archE908ELNS1_3gpuE7ELNS1_3repE0EEENS1_30default_config_static_selectorELNS0_4arch9wavefront6targetE1EEEvSF_
	.p2align	8
	.type	_ZN7rocprim17ROCPRIM_400000_NS6detail17trampoline_kernelINS0_14default_configENS1_22reduce_config_selectorIfEEZNS1_11reduce_implILb1ES3_PfS7_fN6thrust23THRUST_200600_302600_NS4plusIfEEEE10hipError_tPvRmT1_T2_T3_mT4_P12ihipStream_tbEUlT_E1_NS1_11comp_targetILNS1_3genE3ELNS1_11target_archE908ELNS1_3gpuE7ELNS1_3repE0EEENS1_30default_config_static_selectorELNS0_4arch9wavefront6targetE1EEEvSF_,@function
_ZN7rocprim17ROCPRIM_400000_NS6detail17trampoline_kernelINS0_14default_configENS1_22reduce_config_selectorIfEEZNS1_11reduce_implILb1ES3_PfS7_fN6thrust23THRUST_200600_302600_NS4plusIfEEEE10hipError_tPvRmT1_T2_T3_mT4_P12ihipStream_tbEUlT_E1_NS1_11comp_targetILNS1_3genE3ELNS1_11target_archE908ELNS1_3gpuE7ELNS1_3repE0EEENS1_30default_config_static_selectorELNS0_4arch9wavefront6targetE1EEEvSF_: ; @_ZN7rocprim17ROCPRIM_400000_NS6detail17trampoline_kernelINS0_14default_configENS1_22reduce_config_selectorIfEEZNS1_11reduce_implILb1ES3_PfS7_fN6thrust23THRUST_200600_302600_NS4plusIfEEEE10hipError_tPvRmT1_T2_T3_mT4_P12ihipStream_tbEUlT_E1_NS1_11comp_targetILNS1_3genE3ELNS1_11target_archE908ELNS1_3gpuE7ELNS1_3repE0EEENS1_30default_config_static_selectorELNS0_4arch9wavefront6targetE1EEEvSF_
; %bb.0:
	.section	.rodata,"a",@progbits
	.p2align	6, 0x0
	.amdhsa_kernel _ZN7rocprim17ROCPRIM_400000_NS6detail17trampoline_kernelINS0_14default_configENS1_22reduce_config_selectorIfEEZNS1_11reduce_implILb1ES3_PfS7_fN6thrust23THRUST_200600_302600_NS4plusIfEEEE10hipError_tPvRmT1_T2_T3_mT4_P12ihipStream_tbEUlT_E1_NS1_11comp_targetILNS1_3genE3ELNS1_11target_archE908ELNS1_3gpuE7ELNS1_3repE0EEENS1_30default_config_static_selectorELNS0_4arch9wavefront6targetE1EEEvSF_
		.amdhsa_group_segment_fixed_size 0
		.amdhsa_private_segment_fixed_size 0
		.amdhsa_kernarg_size 40
		.amdhsa_user_sgpr_count 6
		.amdhsa_user_sgpr_private_segment_buffer 1
		.amdhsa_user_sgpr_dispatch_ptr 0
		.amdhsa_user_sgpr_queue_ptr 0
		.amdhsa_user_sgpr_kernarg_segment_ptr 1
		.amdhsa_user_sgpr_dispatch_id 0
		.amdhsa_user_sgpr_flat_scratch_init 0
		.amdhsa_user_sgpr_kernarg_preload_length 0
		.amdhsa_user_sgpr_kernarg_preload_offset 0
		.amdhsa_user_sgpr_private_segment_size 0
		.amdhsa_uses_dynamic_stack 0
		.amdhsa_system_sgpr_private_segment_wavefront_offset 0
		.amdhsa_system_sgpr_workgroup_id_x 1
		.amdhsa_system_sgpr_workgroup_id_y 0
		.amdhsa_system_sgpr_workgroup_id_z 0
		.amdhsa_system_sgpr_workgroup_info 0
		.amdhsa_system_vgpr_workitem_id 0
		.amdhsa_next_free_vgpr 1
		.amdhsa_next_free_sgpr 0
		.amdhsa_accum_offset 4
		.amdhsa_reserve_vcc 0
		.amdhsa_reserve_flat_scratch 0
		.amdhsa_float_round_mode_32 0
		.amdhsa_float_round_mode_16_64 0
		.amdhsa_float_denorm_mode_32 3
		.amdhsa_float_denorm_mode_16_64 3
		.amdhsa_dx10_clamp 1
		.amdhsa_ieee_mode 1
		.amdhsa_fp16_overflow 0
		.amdhsa_tg_split 0
		.amdhsa_exception_fp_ieee_invalid_op 0
		.amdhsa_exception_fp_denorm_src 0
		.amdhsa_exception_fp_ieee_div_zero 0
		.amdhsa_exception_fp_ieee_overflow 0
		.amdhsa_exception_fp_ieee_underflow 0
		.amdhsa_exception_fp_ieee_inexact 0
		.amdhsa_exception_int_div_zero 0
	.end_amdhsa_kernel
	.section	.text._ZN7rocprim17ROCPRIM_400000_NS6detail17trampoline_kernelINS0_14default_configENS1_22reduce_config_selectorIfEEZNS1_11reduce_implILb1ES3_PfS7_fN6thrust23THRUST_200600_302600_NS4plusIfEEEE10hipError_tPvRmT1_T2_T3_mT4_P12ihipStream_tbEUlT_E1_NS1_11comp_targetILNS1_3genE3ELNS1_11target_archE908ELNS1_3gpuE7ELNS1_3repE0EEENS1_30default_config_static_selectorELNS0_4arch9wavefront6targetE1EEEvSF_,"axG",@progbits,_ZN7rocprim17ROCPRIM_400000_NS6detail17trampoline_kernelINS0_14default_configENS1_22reduce_config_selectorIfEEZNS1_11reduce_implILb1ES3_PfS7_fN6thrust23THRUST_200600_302600_NS4plusIfEEEE10hipError_tPvRmT1_T2_T3_mT4_P12ihipStream_tbEUlT_E1_NS1_11comp_targetILNS1_3genE3ELNS1_11target_archE908ELNS1_3gpuE7ELNS1_3repE0EEENS1_30default_config_static_selectorELNS0_4arch9wavefront6targetE1EEEvSF_,comdat
.Lfunc_end12:
	.size	_ZN7rocprim17ROCPRIM_400000_NS6detail17trampoline_kernelINS0_14default_configENS1_22reduce_config_selectorIfEEZNS1_11reduce_implILb1ES3_PfS7_fN6thrust23THRUST_200600_302600_NS4plusIfEEEE10hipError_tPvRmT1_T2_T3_mT4_P12ihipStream_tbEUlT_E1_NS1_11comp_targetILNS1_3genE3ELNS1_11target_archE908ELNS1_3gpuE7ELNS1_3repE0EEENS1_30default_config_static_selectorELNS0_4arch9wavefront6targetE1EEEvSF_, .Lfunc_end12-_ZN7rocprim17ROCPRIM_400000_NS6detail17trampoline_kernelINS0_14default_configENS1_22reduce_config_selectorIfEEZNS1_11reduce_implILb1ES3_PfS7_fN6thrust23THRUST_200600_302600_NS4plusIfEEEE10hipError_tPvRmT1_T2_T3_mT4_P12ihipStream_tbEUlT_E1_NS1_11comp_targetILNS1_3genE3ELNS1_11target_archE908ELNS1_3gpuE7ELNS1_3repE0EEENS1_30default_config_static_selectorELNS0_4arch9wavefront6targetE1EEEvSF_
                                        ; -- End function
	.section	.AMDGPU.csdata,"",@progbits
; Kernel info:
; codeLenInByte = 0
; NumSgprs: 4
; NumVgprs: 0
; NumAgprs: 0
; TotalNumVgprs: 0
; ScratchSize: 0
; MemoryBound: 0
; FloatMode: 240
; IeeeMode: 1
; LDSByteSize: 0 bytes/workgroup (compile time only)
; SGPRBlocks: 0
; VGPRBlocks: 0
; NumSGPRsForWavesPerEU: 4
; NumVGPRsForWavesPerEU: 1
; AccumOffset: 4
; Occupancy: 8
; WaveLimiterHint : 0
; COMPUTE_PGM_RSRC2:SCRATCH_EN: 0
; COMPUTE_PGM_RSRC2:USER_SGPR: 6
; COMPUTE_PGM_RSRC2:TRAP_HANDLER: 0
; COMPUTE_PGM_RSRC2:TGID_X_EN: 1
; COMPUTE_PGM_RSRC2:TGID_Y_EN: 0
; COMPUTE_PGM_RSRC2:TGID_Z_EN: 0
; COMPUTE_PGM_RSRC2:TIDIG_COMP_CNT: 0
; COMPUTE_PGM_RSRC3_GFX90A:ACCUM_OFFSET: 0
; COMPUTE_PGM_RSRC3_GFX90A:TG_SPLIT: 0
	.section	.text._ZN7rocprim17ROCPRIM_400000_NS6detail17trampoline_kernelINS0_14default_configENS1_22reduce_config_selectorIfEEZNS1_11reduce_implILb1ES3_PfS7_fN6thrust23THRUST_200600_302600_NS4plusIfEEEE10hipError_tPvRmT1_T2_T3_mT4_P12ihipStream_tbEUlT_E1_NS1_11comp_targetILNS1_3genE2ELNS1_11target_archE906ELNS1_3gpuE6ELNS1_3repE0EEENS1_30default_config_static_selectorELNS0_4arch9wavefront6targetE1EEEvSF_,"axG",@progbits,_ZN7rocprim17ROCPRIM_400000_NS6detail17trampoline_kernelINS0_14default_configENS1_22reduce_config_selectorIfEEZNS1_11reduce_implILb1ES3_PfS7_fN6thrust23THRUST_200600_302600_NS4plusIfEEEE10hipError_tPvRmT1_T2_T3_mT4_P12ihipStream_tbEUlT_E1_NS1_11comp_targetILNS1_3genE2ELNS1_11target_archE906ELNS1_3gpuE6ELNS1_3repE0EEENS1_30default_config_static_selectorELNS0_4arch9wavefront6targetE1EEEvSF_,comdat
	.protected	_ZN7rocprim17ROCPRIM_400000_NS6detail17trampoline_kernelINS0_14default_configENS1_22reduce_config_selectorIfEEZNS1_11reduce_implILb1ES3_PfS7_fN6thrust23THRUST_200600_302600_NS4plusIfEEEE10hipError_tPvRmT1_T2_T3_mT4_P12ihipStream_tbEUlT_E1_NS1_11comp_targetILNS1_3genE2ELNS1_11target_archE906ELNS1_3gpuE6ELNS1_3repE0EEENS1_30default_config_static_selectorELNS0_4arch9wavefront6targetE1EEEvSF_ ; -- Begin function _ZN7rocprim17ROCPRIM_400000_NS6detail17trampoline_kernelINS0_14default_configENS1_22reduce_config_selectorIfEEZNS1_11reduce_implILb1ES3_PfS7_fN6thrust23THRUST_200600_302600_NS4plusIfEEEE10hipError_tPvRmT1_T2_T3_mT4_P12ihipStream_tbEUlT_E1_NS1_11comp_targetILNS1_3genE2ELNS1_11target_archE906ELNS1_3gpuE6ELNS1_3repE0EEENS1_30default_config_static_selectorELNS0_4arch9wavefront6targetE1EEEvSF_
	.globl	_ZN7rocprim17ROCPRIM_400000_NS6detail17trampoline_kernelINS0_14default_configENS1_22reduce_config_selectorIfEEZNS1_11reduce_implILb1ES3_PfS7_fN6thrust23THRUST_200600_302600_NS4plusIfEEEE10hipError_tPvRmT1_T2_T3_mT4_P12ihipStream_tbEUlT_E1_NS1_11comp_targetILNS1_3genE2ELNS1_11target_archE906ELNS1_3gpuE6ELNS1_3repE0EEENS1_30default_config_static_selectorELNS0_4arch9wavefront6targetE1EEEvSF_
	.p2align	8
	.type	_ZN7rocprim17ROCPRIM_400000_NS6detail17trampoline_kernelINS0_14default_configENS1_22reduce_config_selectorIfEEZNS1_11reduce_implILb1ES3_PfS7_fN6thrust23THRUST_200600_302600_NS4plusIfEEEE10hipError_tPvRmT1_T2_T3_mT4_P12ihipStream_tbEUlT_E1_NS1_11comp_targetILNS1_3genE2ELNS1_11target_archE906ELNS1_3gpuE6ELNS1_3repE0EEENS1_30default_config_static_selectorELNS0_4arch9wavefront6targetE1EEEvSF_,@function
_ZN7rocprim17ROCPRIM_400000_NS6detail17trampoline_kernelINS0_14default_configENS1_22reduce_config_selectorIfEEZNS1_11reduce_implILb1ES3_PfS7_fN6thrust23THRUST_200600_302600_NS4plusIfEEEE10hipError_tPvRmT1_T2_T3_mT4_P12ihipStream_tbEUlT_E1_NS1_11comp_targetILNS1_3genE2ELNS1_11target_archE906ELNS1_3gpuE6ELNS1_3repE0EEENS1_30default_config_static_selectorELNS0_4arch9wavefront6targetE1EEEvSF_: ; @_ZN7rocprim17ROCPRIM_400000_NS6detail17trampoline_kernelINS0_14default_configENS1_22reduce_config_selectorIfEEZNS1_11reduce_implILb1ES3_PfS7_fN6thrust23THRUST_200600_302600_NS4plusIfEEEE10hipError_tPvRmT1_T2_T3_mT4_P12ihipStream_tbEUlT_E1_NS1_11comp_targetILNS1_3genE2ELNS1_11target_archE906ELNS1_3gpuE6ELNS1_3repE0EEENS1_30default_config_static_selectorELNS0_4arch9wavefront6targetE1EEEvSF_
; %bb.0:
	.section	.rodata,"a",@progbits
	.p2align	6, 0x0
	.amdhsa_kernel _ZN7rocprim17ROCPRIM_400000_NS6detail17trampoline_kernelINS0_14default_configENS1_22reduce_config_selectorIfEEZNS1_11reduce_implILb1ES3_PfS7_fN6thrust23THRUST_200600_302600_NS4plusIfEEEE10hipError_tPvRmT1_T2_T3_mT4_P12ihipStream_tbEUlT_E1_NS1_11comp_targetILNS1_3genE2ELNS1_11target_archE906ELNS1_3gpuE6ELNS1_3repE0EEENS1_30default_config_static_selectorELNS0_4arch9wavefront6targetE1EEEvSF_
		.amdhsa_group_segment_fixed_size 0
		.amdhsa_private_segment_fixed_size 0
		.amdhsa_kernarg_size 40
		.amdhsa_user_sgpr_count 6
		.amdhsa_user_sgpr_private_segment_buffer 1
		.amdhsa_user_sgpr_dispatch_ptr 0
		.amdhsa_user_sgpr_queue_ptr 0
		.amdhsa_user_sgpr_kernarg_segment_ptr 1
		.amdhsa_user_sgpr_dispatch_id 0
		.amdhsa_user_sgpr_flat_scratch_init 0
		.amdhsa_user_sgpr_kernarg_preload_length 0
		.amdhsa_user_sgpr_kernarg_preload_offset 0
		.amdhsa_user_sgpr_private_segment_size 0
		.amdhsa_uses_dynamic_stack 0
		.amdhsa_system_sgpr_private_segment_wavefront_offset 0
		.amdhsa_system_sgpr_workgroup_id_x 1
		.amdhsa_system_sgpr_workgroup_id_y 0
		.amdhsa_system_sgpr_workgroup_id_z 0
		.amdhsa_system_sgpr_workgroup_info 0
		.amdhsa_system_vgpr_workitem_id 0
		.amdhsa_next_free_vgpr 1
		.amdhsa_next_free_sgpr 0
		.amdhsa_accum_offset 4
		.amdhsa_reserve_vcc 0
		.amdhsa_reserve_flat_scratch 0
		.amdhsa_float_round_mode_32 0
		.amdhsa_float_round_mode_16_64 0
		.amdhsa_float_denorm_mode_32 3
		.amdhsa_float_denorm_mode_16_64 3
		.amdhsa_dx10_clamp 1
		.amdhsa_ieee_mode 1
		.amdhsa_fp16_overflow 0
		.amdhsa_tg_split 0
		.amdhsa_exception_fp_ieee_invalid_op 0
		.amdhsa_exception_fp_denorm_src 0
		.amdhsa_exception_fp_ieee_div_zero 0
		.amdhsa_exception_fp_ieee_overflow 0
		.amdhsa_exception_fp_ieee_underflow 0
		.amdhsa_exception_fp_ieee_inexact 0
		.amdhsa_exception_int_div_zero 0
	.end_amdhsa_kernel
	.section	.text._ZN7rocprim17ROCPRIM_400000_NS6detail17trampoline_kernelINS0_14default_configENS1_22reduce_config_selectorIfEEZNS1_11reduce_implILb1ES3_PfS7_fN6thrust23THRUST_200600_302600_NS4plusIfEEEE10hipError_tPvRmT1_T2_T3_mT4_P12ihipStream_tbEUlT_E1_NS1_11comp_targetILNS1_3genE2ELNS1_11target_archE906ELNS1_3gpuE6ELNS1_3repE0EEENS1_30default_config_static_selectorELNS0_4arch9wavefront6targetE1EEEvSF_,"axG",@progbits,_ZN7rocprim17ROCPRIM_400000_NS6detail17trampoline_kernelINS0_14default_configENS1_22reduce_config_selectorIfEEZNS1_11reduce_implILb1ES3_PfS7_fN6thrust23THRUST_200600_302600_NS4plusIfEEEE10hipError_tPvRmT1_T2_T3_mT4_P12ihipStream_tbEUlT_E1_NS1_11comp_targetILNS1_3genE2ELNS1_11target_archE906ELNS1_3gpuE6ELNS1_3repE0EEENS1_30default_config_static_selectorELNS0_4arch9wavefront6targetE1EEEvSF_,comdat
.Lfunc_end13:
	.size	_ZN7rocprim17ROCPRIM_400000_NS6detail17trampoline_kernelINS0_14default_configENS1_22reduce_config_selectorIfEEZNS1_11reduce_implILb1ES3_PfS7_fN6thrust23THRUST_200600_302600_NS4plusIfEEEE10hipError_tPvRmT1_T2_T3_mT4_P12ihipStream_tbEUlT_E1_NS1_11comp_targetILNS1_3genE2ELNS1_11target_archE906ELNS1_3gpuE6ELNS1_3repE0EEENS1_30default_config_static_selectorELNS0_4arch9wavefront6targetE1EEEvSF_, .Lfunc_end13-_ZN7rocprim17ROCPRIM_400000_NS6detail17trampoline_kernelINS0_14default_configENS1_22reduce_config_selectorIfEEZNS1_11reduce_implILb1ES3_PfS7_fN6thrust23THRUST_200600_302600_NS4plusIfEEEE10hipError_tPvRmT1_T2_T3_mT4_P12ihipStream_tbEUlT_E1_NS1_11comp_targetILNS1_3genE2ELNS1_11target_archE906ELNS1_3gpuE6ELNS1_3repE0EEENS1_30default_config_static_selectorELNS0_4arch9wavefront6targetE1EEEvSF_
                                        ; -- End function
	.section	.AMDGPU.csdata,"",@progbits
; Kernel info:
; codeLenInByte = 0
; NumSgprs: 4
; NumVgprs: 0
; NumAgprs: 0
; TotalNumVgprs: 0
; ScratchSize: 0
; MemoryBound: 0
; FloatMode: 240
; IeeeMode: 1
; LDSByteSize: 0 bytes/workgroup (compile time only)
; SGPRBlocks: 0
; VGPRBlocks: 0
; NumSGPRsForWavesPerEU: 4
; NumVGPRsForWavesPerEU: 1
; AccumOffset: 4
; Occupancy: 8
; WaveLimiterHint : 0
; COMPUTE_PGM_RSRC2:SCRATCH_EN: 0
; COMPUTE_PGM_RSRC2:USER_SGPR: 6
; COMPUTE_PGM_RSRC2:TRAP_HANDLER: 0
; COMPUTE_PGM_RSRC2:TGID_X_EN: 1
; COMPUTE_PGM_RSRC2:TGID_Y_EN: 0
; COMPUTE_PGM_RSRC2:TGID_Z_EN: 0
; COMPUTE_PGM_RSRC2:TIDIG_COMP_CNT: 0
; COMPUTE_PGM_RSRC3_GFX90A:ACCUM_OFFSET: 0
; COMPUTE_PGM_RSRC3_GFX90A:TG_SPLIT: 0
	.section	.text._ZN7rocprim17ROCPRIM_400000_NS6detail17trampoline_kernelINS0_14default_configENS1_22reduce_config_selectorIfEEZNS1_11reduce_implILb1ES3_PfS7_fN6thrust23THRUST_200600_302600_NS4plusIfEEEE10hipError_tPvRmT1_T2_T3_mT4_P12ihipStream_tbEUlT_E1_NS1_11comp_targetILNS1_3genE10ELNS1_11target_archE1201ELNS1_3gpuE5ELNS1_3repE0EEENS1_30default_config_static_selectorELNS0_4arch9wavefront6targetE1EEEvSF_,"axG",@progbits,_ZN7rocprim17ROCPRIM_400000_NS6detail17trampoline_kernelINS0_14default_configENS1_22reduce_config_selectorIfEEZNS1_11reduce_implILb1ES3_PfS7_fN6thrust23THRUST_200600_302600_NS4plusIfEEEE10hipError_tPvRmT1_T2_T3_mT4_P12ihipStream_tbEUlT_E1_NS1_11comp_targetILNS1_3genE10ELNS1_11target_archE1201ELNS1_3gpuE5ELNS1_3repE0EEENS1_30default_config_static_selectorELNS0_4arch9wavefront6targetE1EEEvSF_,comdat
	.protected	_ZN7rocprim17ROCPRIM_400000_NS6detail17trampoline_kernelINS0_14default_configENS1_22reduce_config_selectorIfEEZNS1_11reduce_implILb1ES3_PfS7_fN6thrust23THRUST_200600_302600_NS4plusIfEEEE10hipError_tPvRmT1_T2_T3_mT4_P12ihipStream_tbEUlT_E1_NS1_11comp_targetILNS1_3genE10ELNS1_11target_archE1201ELNS1_3gpuE5ELNS1_3repE0EEENS1_30default_config_static_selectorELNS0_4arch9wavefront6targetE1EEEvSF_ ; -- Begin function _ZN7rocprim17ROCPRIM_400000_NS6detail17trampoline_kernelINS0_14default_configENS1_22reduce_config_selectorIfEEZNS1_11reduce_implILb1ES3_PfS7_fN6thrust23THRUST_200600_302600_NS4plusIfEEEE10hipError_tPvRmT1_T2_T3_mT4_P12ihipStream_tbEUlT_E1_NS1_11comp_targetILNS1_3genE10ELNS1_11target_archE1201ELNS1_3gpuE5ELNS1_3repE0EEENS1_30default_config_static_selectorELNS0_4arch9wavefront6targetE1EEEvSF_
	.globl	_ZN7rocprim17ROCPRIM_400000_NS6detail17trampoline_kernelINS0_14default_configENS1_22reduce_config_selectorIfEEZNS1_11reduce_implILb1ES3_PfS7_fN6thrust23THRUST_200600_302600_NS4plusIfEEEE10hipError_tPvRmT1_T2_T3_mT4_P12ihipStream_tbEUlT_E1_NS1_11comp_targetILNS1_3genE10ELNS1_11target_archE1201ELNS1_3gpuE5ELNS1_3repE0EEENS1_30default_config_static_selectorELNS0_4arch9wavefront6targetE1EEEvSF_
	.p2align	8
	.type	_ZN7rocprim17ROCPRIM_400000_NS6detail17trampoline_kernelINS0_14default_configENS1_22reduce_config_selectorIfEEZNS1_11reduce_implILb1ES3_PfS7_fN6thrust23THRUST_200600_302600_NS4plusIfEEEE10hipError_tPvRmT1_T2_T3_mT4_P12ihipStream_tbEUlT_E1_NS1_11comp_targetILNS1_3genE10ELNS1_11target_archE1201ELNS1_3gpuE5ELNS1_3repE0EEENS1_30default_config_static_selectorELNS0_4arch9wavefront6targetE1EEEvSF_,@function
_ZN7rocprim17ROCPRIM_400000_NS6detail17trampoline_kernelINS0_14default_configENS1_22reduce_config_selectorIfEEZNS1_11reduce_implILb1ES3_PfS7_fN6thrust23THRUST_200600_302600_NS4plusIfEEEE10hipError_tPvRmT1_T2_T3_mT4_P12ihipStream_tbEUlT_E1_NS1_11comp_targetILNS1_3genE10ELNS1_11target_archE1201ELNS1_3gpuE5ELNS1_3repE0EEENS1_30default_config_static_selectorELNS0_4arch9wavefront6targetE1EEEvSF_: ; @_ZN7rocprim17ROCPRIM_400000_NS6detail17trampoline_kernelINS0_14default_configENS1_22reduce_config_selectorIfEEZNS1_11reduce_implILb1ES3_PfS7_fN6thrust23THRUST_200600_302600_NS4plusIfEEEE10hipError_tPvRmT1_T2_T3_mT4_P12ihipStream_tbEUlT_E1_NS1_11comp_targetILNS1_3genE10ELNS1_11target_archE1201ELNS1_3gpuE5ELNS1_3repE0EEENS1_30default_config_static_selectorELNS0_4arch9wavefront6targetE1EEEvSF_
; %bb.0:
	.section	.rodata,"a",@progbits
	.p2align	6, 0x0
	.amdhsa_kernel _ZN7rocprim17ROCPRIM_400000_NS6detail17trampoline_kernelINS0_14default_configENS1_22reduce_config_selectorIfEEZNS1_11reduce_implILb1ES3_PfS7_fN6thrust23THRUST_200600_302600_NS4plusIfEEEE10hipError_tPvRmT1_T2_T3_mT4_P12ihipStream_tbEUlT_E1_NS1_11comp_targetILNS1_3genE10ELNS1_11target_archE1201ELNS1_3gpuE5ELNS1_3repE0EEENS1_30default_config_static_selectorELNS0_4arch9wavefront6targetE1EEEvSF_
		.amdhsa_group_segment_fixed_size 0
		.amdhsa_private_segment_fixed_size 0
		.amdhsa_kernarg_size 40
		.amdhsa_user_sgpr_count 6
		.amdhsa_user_sgpr_private_segment_buffer 1
		.amdhsa_user_sgpr_dispatch_ptr 0
		.amdhsa_user_sgpr_queue_ptr 0
		.amdhsa_user_sgpr_kernarg_segment_ptr 1
		.amdhsa_user_sgpr_dispatch_id 0
		.amdhsa_user_sgpr_flat_scratch_init 0
		.amdhsa_user_sgpr_kernarg_preload_length 0
		.amdhsa_user_sgpr_kernarg_preload_offset 0
		.amdhsa_user_sgpr_private_segment_size 0
		.amdhsa_uses_dynamic_stack 0
		.amdhsa_system_sgpr_private_segment_wavefront_offset 0
		.amdhsa_system_sgpr_workgroup_id_x 1
		.amdhsa_system_sgpr_workgroup_id_y 0
		.amdhsa_system_sgpr_workgroup_id_z 0
		.amdhsa_system_sgpr_workgroup_info 0
		.amdhsa_system_vgpr_workitem_id 0
		.amdhsa_next_free_vgpr 1
		.amdhsa_next_free_sgpr 0
		.amdhsa_accum_offset 4
		.amdhsa_reserve_vcc 0
		.amdhsa_reserve_flat_scratch 0
		.amdhsa_float_round_mode_32 0
		.amdhsa_float_round_mode_16_64 0
		.amdhsa_float_denorm_mode_32 3
		.amdhsa_float_denorm_mode_16_64 3
		.amdhsa_dx10_clamp 1
		.amdhsa_ieee_mode 1
		.amdhsa_fp16_overflow 0
		.amdhsa_tg_split 0
		.amdhsa_exception_fp_ieee_invalid_op 0
		.amdhsa_exception_fp_denorm_src 0
		.amdhsa_exception_fp_ieee_div_zero 0
		.amdhsa_exception_fp_ieee_overflow 0
		.amdhsa_exception_fp_ieee_underflow 0
		.amdhsa_exception_fp_ieee_inexact 0
		.amdhsa_exception_int_div_zero 0
	.end_amdhsa_kernel
	.section	.text._ZN7rocprim17ROCPRIM_400000_NS6detail17trampoline_kernelINS0_14default_configENS1_22reduce_config_selectorIfEEZNS1_11reduce_implILb1ES3_PfS7_fN6thrust23THRUST_200600_302600_NS4plusIfEEEE10hipError_tPvRmT1_T2_T3_mT4_P12ihipStream_tbEUlT_E1_NS1_11comp_targetILNS1_3genE10ELNS1_11target_archE1201ELNS1_3gpuE5ELNS1_3repE0EEENS1_30default_config_static_selectorELNS0_4arch9wavefront6targetE1EEEvSF_,"axG",@progbits,_ZN7rocprim17ROCPRIM_400000_NS6detail17trampoline_kernelINS0_14default_configENS1_22reduce_config_selectorIfEEZNS1_11reduce_implILb1ES3_PfS7_fN6thrust23THRUST_200600_302600_NS4plusIfEEEE10hipError_tPvRmT1_T2_T3_mT4_P12ihipStream_tbEUlT_E1_NS1_11comp_targetILNS1_3genE10ELNS1_11target_archE1201ELNS1_3gpuE5ELNS1_3repE0EEENS1_30default_config_static_selectorELNS0_4arch9wavefront6targetE1EEEvSF_,comdat
.Lfunc_end14:
	.size	_ZN7rocprim17ROCPRIM_400000_NS6detail17trampoline_kernelINS0_14default_configENS1_22reduce_config_selectorIfEEZNS1_11reduce_implILb1ES3_PfS7_fN6thrust23THRUST_200600_302600_NS4plusIfEEEE10hipError_tPvRmT1_T2_T3_mT4_P12ihipStream_tbEUlT_E1_NS1_11comp_targetILNS1_3genE10ELNS1_11target_archE1201ELNS1_3gpuE5ELNS1_3repE0EEENS1_30default_config_static_selectorELNS0_4arch9wavefront6targetE1EEEvSF_, .Lfunc_end14-_ZN7rocprim17ROCPRIM_400000_NS6detail17trampoline_kernelINS0_14default_configENS1_22reduce_config_selectorIfEEZNS1_11reduce_implILb1ES3_PfS7_fN6thrust23THRUST_200600_302600_NS4plusIfEEEE10hipError_tPvRmT1_T2_T3_mT4_P12ihipStream_tbEUlT_E1_NS1_11comp_targetILNS1_3genE10ELNS1_11target_archE1201ELNS1_3gpuE5ELNS1_3repE0EEENS1_30default_config_static_selectorELNS0_4arch9wavefront6targetE1EEEvSF_
                                        ; -- End function
	.section	.AMDGPU.csdata,"",@progbits
; Kernel info:
; codeLenInByte = 0
; NumSgprs: 4
; NumVgprs: 0
; NumAgprs: 0
; TotalNumVgprs: 0
; ScratchSize: 0
; MemoryBound: 0
; FloatMode: 240
; IeeeMode: 1
; LDSByteSize: 0 bytes/workgroup (compile time only)
; SGPRBlocks: 0
; VGPRBlocks: 0
; NumSGPRsForWavesPerEU: 4
; NumVGPRsForWavesPerEU: 1
; AccumOffset: 4
; Occupancy: 8
; WaveLimiterHint : 0
; COMPUTE_PGM_RSRC2:SCRATCH_EN: 0
; COMPUTE_PGM_RSRC2:USER_SGPR: 6
; COMPUTE_PGM_RSRC2:TRAP_HANDLER: 0
; COMPUTE_PGM_RSRC2:TGID_X_EN: 1
; COMPUTE_PGM_RSRC2:TGID_Y_EN: 0
; COMPUTE_PGM_RSRC2:TGID_Z_EN: 0
; COMPUTE_PGM_RSRC2:TIDIG_COMP_CNT: 0
; COMPUTE_PGM_RSRC3_GFX90A:ACCUM_OFFSET: 0
; COMPUTE_PGM_RSRC3_GFX90A:TG_SPLIT: 0
	.section	.text._ZN7rocprim17ROCPRIM_400000_NS6detail17trampoline_kernelINS0_14default_configENS1_22reduce_config_selectorIfEEZNS1_11reduce_implILb1ES3_PfS7_fN6thrust23THRUST_200600_302600_NS4plusIfEEEE10hipError_tPvRmT1_T2_T3_mT4_P12ihipStream_tbEUlT_E1_NS1_11comp_targetILNS1_3genE10ELNS1_11target_archE1200ELNS1_3gpuE4ELNS1_3repE0EEENS1_30default_config_static_selectorELNS0_4arch9wavefront6targetE1EEEvSF_,"axG",@progbits,_ZN7rocprim17ROCPRIM_400000_NS6detail17trampoline_kernelINS0_14default_configENS1_22reduce_config_selectorIfEEZNS1_11reduce_implILb1ES3_PfS7_fN6thrust23THRUST_200600_302600_NS4plusIfEEEE10hipError_tPvRmT1_T2_T3_mT4_P12ihipStream_tbEUlT_E1_NS1_11comp_targetILNS1_3genE10ELNS1_11target_archE1200ELNS1_3gpuE4ELNS1_3repE0EEENS1_30default_config_static_selectorELNS0_4arch9wavefront6targetE1EEEvSF_,comdat
	.protected	_ZN7rocprim17ROCPRIM_400000_NS6detail17trampoline_kernelINS0_14default_configENS1_22reduce_config_selectorIfEEZNS1_11reduce_implILb1ES3_PfS7_fN6thrust23THRUST_200600_302600_NS4plusIfEEEE10hipError_tPvRmT1_T2_T3_mT4_P12ihipStream_tbEUlT_E1_NS1_11comp_targetILNS1_3genE10ELNS1_11target_archE1200ELNS1_3gpuE4ELNS1_3repE0EEENS1_30default_config_static_selectorELNS0_4arch9wavefront6targetE1EEEvSF_ ; -- Begin function _ZN7rocprim17ROCPRIM_400000_NS6detail17trampoline_kernelINS0_14default_configENS1_22reduce_config_selectorIfEEZNS1_11reduce_implILb1ES3_PfS7_fN6thrust23THRUST_200600_302600_NS4plusIfEEEE10hipError_tPvRmT1_T2_T3_mT4_P12ihipStream_tbEUlT_E1_NS1_11comp_targetILNS1_3genE10ELNS1_11target_archE1200ELNS1_3gpuE4ELNS1_3repE0EEENS1_30default_config_static_selectorELNS0_4arch9wavefront6targetE1EEEvSF_
	.globl	_ZN7rocprim17ROCPRIM_400000_NS6detail17trampoline_kernelINS0_14default_configENS1_22reduce_config_selectorIfEEZNS1_11reduce_implILb1ES3_PfS7_fN6thrust23THRUST_200600_302600_NS4plusIfEEEE10hipError_tPvRmT1_T2_T3_mT4_P12ihipStream_tbEUlT_E1_NS1_11comp_targetILNS1_3genE10ELNS1_11target_archE1200ELNS1_3gpuE4ELNS1_3repE0EEENS1_30default_config_static_selectorELNS0_4arch9wavefront6targetE1EEEvSF_
	.p2align	8
	.type	_ZN7rocprim17ROCPRIM_400000_NS6detail17trampoline_kernelINS0_14default_configENS1_22reduce_config_selectorIfEEZNS1_11reduce_implILb1ES3_PfS7_fN6thrust23THRUST_200600_302600_NS4plusIfEEEE10hipError_tPvRmT1_T2_T3_mT4_P12ihipStream_tbEUlT_E1_NS1_11comp_targetILNS1_3genE10ELNS1_11target_archE1200ELNS1_3gpuE4ELNS1_3repE0EEENS1_30default_config_static_selectorELNS0_4arch9wavefront6targetE1EEEvSF_,@function
_ZN7rocprim17ROCPRIM_400000_NS6detail17trampoline_kernelINS0_14default_configENS1_22reduce_config_selectorIfEEZNS1_11reduce_implILb1ES3_PfS7_fN6thrust23THRUST_200600_302600_NS4plusIfEEEE10hipError_tPvRmT1_T2_T3_mT4_P12ihipStream_tbEUlT_E1_NS1_11comp_targetILNS1_3genE10ELNS1_11target_archE1200ELNS1_3gpuE4ELNS1_3repE0EEENS1_30default_config_static_selectorELNS0_4arch9wavefront6targetE1EEEvSF_: ; @_ZN7rocprim17ROCPRIM_400000_NS6detail17trampoline_kernelINS0_14default_configENS1_22reduce_config_selectorIfEEZNS1_11reduce_implILb1ES3_PfS7_fN6thrust23THRUST_200600_302600_NS4plusIfEEEE10hipError_tPvRmT1_T2_T3_mT4_P12ihipStream_tbEUlT_E1_NS1_11comp_targetILNS1_3genE10ELNS1_11target_archE1200ELNS1_3gpuE4ELNS1_3repE0EEENS1_30default_config_static_selectorELNS0_4arch9wavefront6targetE1EEEvSF_
; %bb.0:
	.section	.rodata,"a",@progbits
	.p2align	6, 0x0
	.amdhsa_kernel _ZN7rocprim17ROCPRIM_400000_NS6detail17trampoline_kernelINS0_14default_configENS1_22reduce_config_selectorIfEEZNS1_11reduce_implILb1ES3_PfS7_fN6thrust23THRUST_200600_302600_NS4plusIfEEEE10hipError_tPvRmT1_T2_T3_mT4_P12ihipStream_tbEUlT_E1_NS1_11comp_targetILNS1_3genE10ELNS1_11target_archE1200ELNS1_3gpuE4ELNS1_3repE0EEENS1_30default_config_static_selectorELNS0_4arch9wavefront6targetE1EEEvSF_
		.amdhsa_group_segment_fixed_size 0
		.amdhsa_private_segment_fixed_size 0
		.amdhsa_kernarg_size 40
		.amdhsa_user_sgpr_count 6
		.amdhsa_user_sgpr_private_segment_buffer 1
		.amdhsa_user_sgpr_dispatch_ptr 0
		.amdhsa_user_sgpr_queue_ptr 0
		.amdhsa_user_sgpr_kernarg_segment_ptr 1
		.amdhsa_user_sgpr_dispatch_id 0
		.amdhsa_user_sgpr_flat_scratch_init 0
		.amdhsa_user_sgpr_kernarg_preload_length 0
		.amdhsa_user_sgpr_kernarg_preload_offset 0
		.amdhsa_user_sgpr_private_segment_size 0
		.amdhsa_uses_dynamic_stack 0
		.amdhsa_system_sgpr_private_segment_wavefront_offset 0
		.amdhsa_system_sgpr_workgroup_id_x 1
		.amdhsa_system_sgpr_workgroup_id_y 0
		.amdhsa_system_sgpr_workgroup_id_z 0
		.amdhsa_system_sgpr_workgroup_info 0
		.amdhsa_system_vgpr_workitem_id 0
		.amdhsa_next_free_vgpr 1
		.amdhsa_next_free_sgpr 0
		.amdhsa_accum_offset 4
		.amdhsa_reserve_vcc 0
		.amdhsa_reserve_flat_scratch 0
		.amdhsa_float_round_mode_32 0
		.amdhsa_float_round_mode_16_64 0
		.amdhsa_float_denorm_mode_32 3
		.amdhsa_float_denorm_mode_16_64 3
		.amdhsa_dx10_clamp 1
		.amdhsa_ieee_mode 1
		.amdhsa_fp16_overflow 0
		.amdhsa_tg_split 0
		.amdhsa_exception_fp_ieee_invalid_op 0
		.amdhsa_exception_fp_denorm_src 0
		.amdhsa_exception_fp_ieee_div_zero 0
		.amdhsa_exception_fp_ieee_overflow 0
		.amdhsa_exception_fp_ieee_underflow 0
		.amdhsa_exception_fp_ieee_inexact 0
		.amdhsa_exception_int_div_zero 0
	.end_amdhsa_kernel
	.section	.text._ZN7rocprim17ROCPRIM_400000_NS6detail17trampoline_kernelINS0_14default_configENS1_22reduce_config_selectorIfEEZNS1_11reduce_implILb1ES3_PfS7_fN6thrust23THRUST_200600_302600_NS4plusIfEEEE10hipError_tPvRmT1_T2_T3_mT4_P12ihipStream_tbEUlT_E1_NS1_11comp_targetILNS1_3genE10ELNS1_11target_archE1200ELNS1_3gpuE4ELNS1_3repE0EEENS1_30default_config_static_selectorELNS0_4arch9wavefront6targetE1EEEvSF_,"axG",@progbits,_ZN7rocprim17ROCPRIM_400000_NS6detail17trampoline_kernelINS0_14default_configENS1_22reduce_config_selectorIfEEZNS1_11reduce_implILb1ES3_PfS7_fN6thrust23THRUST_200600_302600_NS4plusIfEEEE10hipError_tPvRmT1_T2_T3_mT4_P12ihipStream_tbEUlT_E1_NS1_11comp_targetILNS1_3genE10ELNS1_11target_archE1200ELNS1_3gpuE4ELNS1_3repE0EEENS1_30default_config_static_selectorELNS0_4arch9wavefront6targetE1EEEvSF_,comdat
.Lfunc_end15:
	.size	_ZN7rocprim17ROCPRIM_400000_NS6detail17trampoline_kernelINS0_14default_configENS1_22reduce_config_selectorIfEEZNS1_11reduce_implILb1ES3_PfS7_fN6thrust23THRUST_200600_302600_NS4plusIfEEEE10hipError_tPvRmT1_T2_T3_mT4_P12ihipStream_tbEUlT_E1_NS1_11comp_targetILNS1_3genE10ELNS1_11target_archE1200ELNS1_3gpuE4ELNS1_3repE0EEENS1_30default_config_static_selectorELNS0_4arch9wavefront6targetE1EEEvSF_, .Lfunc_end15-_ZN7rocprim17ROCPRIM_400000_NS6detail17trampoline_kernelINS0_14default_configENS1_22reduce_config_selectorIfEEZNS1_11reduce_implILb1ES3_PfS7_fN6thrust23THRUST_200600_302600_NS4plusIfEEEE10hipError_tPvRmT1_T2_T3_mT4_P12ihipStream_tbEUlT_E1_NS1_11comp_targetILNS1_3genE10ELNS1_11target_archE1200ELNS1_3gpuE4ELNS1_3repE0EEENS1_30default_config_static_selectorELNS0_4arch9wavefront6targetE1EEEvSF_
                                        ; -- End function
	.section	.AMDGPU.csdata,"",@progbits
; Kernel info:
; codeLenInByte = 0
; NumSgprs: 4
; NumVgprs: 0
; NumAgprs: 0
; TotalNumVgprs: 0
; ScratchSize: 0
; MemoryBound: 0
; FloatMode: 240
; IeeeMode: 1
; LDSByteSize: 0 bytes/workgroup (compile time only)
; SGPRBlocks: 0
; VGPRBlocks: 0
; NumSGPRsForWavesPerEU: 4
; NumVGPRsForWavesPerEU: 1
; AccumOffset: 4
; Occupancy: 8
; WaveLimiterHint : 0
; COMPUTE_PGM_RSRC2:SCRATCH_EN: 0
; COMPUTE_PGM_RSRC2:USER_SGPR: 6
; COMPUTE_PGM_RSRC2:TRAP_HANDLER: 0
; COMPUTE_PGM_RSRC2:TGID_X_EN: 1
; COMPUTE_PGM_RSRC2:TGID_Y_EN: 0
; COMPUTE_PGM_RSRC2:TGID_Z_EN: 0
; COMPUTE_PGM_RSRC2:TIDIG_COMP_CNT: 0
; COMPUTE_PGM_RSRC3_GFX90A:ACCUM_OFFSET: 0
; COMPUTE_PGM_RSRC3_GFX90A:TG_SPLIT: 0
	.section	.text._ZN7rocprim17ROCPRIM_400000_NS6detail17trampoline_kernelINS0_14default_configENS1_22reduce_config_selectorIfEEZNS1_11reduce_implILb1ES3_PfS7_fN6thrust23THRUST_200600_302600_NS4plusIfEEEE10hipError_tPvRmT1_T2_T3_mT4_P12ihipStream_tbEUlT_E1_NS1_11comp_targetILNS1_3genE9ELNS1_11target_archE1100ELNS1_3gpuE3ELNS1_3repE0EEENS1_30default_config_static_selectorELNS0_4arch9wavefront6targetE1EEEvSF_,"axG",@progbits,_ZN7rocprim17ROCPRIM_400000_NS6detail17trampoline_kernelINS0_14default_configENS1_22reduce_config_selectorIfEEZNS1_11reduce_implILb1ES3_PfS7_fN6thrust23THRUST_200600_302600_NS4plusIfEEEE10hipError_tPvRmT1_T2_T3_mT4_P12ihipStream_tbEUlT_E1_NS1_11comp_targetILNS1_3genE9ELNS1_11target_archE1100ELNS1_3gpuE3ELNS1_3repE0EEENS1_30default_config_static_selectorELNS0_4arch9wavefront6targetE1EEEvSF_,comdat
	.protected	_ZN7rocprim17ROCPRIM_400000_NS6detail17trampoline_kernelINS0_14default_configENS1_22reduce_config_selectorIfEEZNS1_11reduce_implILb1ES3_PfS7_fN6thrust23THRUST_200600_302600_NS4plusIfEEEE10hipError_tPvRmT1_T2_T3_mT4_P12ihipStream_tbEUlT_E1_NS1_11comp_targetILNS1_3genE9ELNS1_11target_archE1100ELNS1_3gpuE3ELNS1_3repE0EEENS1_30default_config_static_selectorELNS0_4arch9wavefront6targetE1EEEvSF_ ; -- Begin function _ZN7rocprim17ROCPRIM_400000_NS6detail17trampoline_kernelINS0_14default_configENS1_22reduce_config_selectorIfEEZNS1_11reduce_implILb1ES3_PfS7_fN6thrust23THRUST_200600_302600_NS4plusIfEEEE10hipError_tPvRmT1_T2_T3_mT4_P12ihipStream_tbEUlT_E1_NS1_11comp_targetILNS1_3genE9ELNS1_11target_archE1100ELNS1_3gpuE3ELNS1_3repE0EEENS1_30default_config_static_selectorELNS0_4arch9wavefront6targetE1EEEvSF_
	.globl	_ZN7rocprim17ROCPRIM_400000_NS6detail17trampoline_kernelINS0_14default_configENS1_22reduce_config_selectorIfEEZNS1_11reduce_implILb1ES3_PfS7_fN6thrust23THRUST_200600_302600_NS4plusIfEEEE10hipError_tPvRmT1_T2_T3_mT4_P12ihipStream_tbEUlT_E1_NS1_11comp_targetILNS1_3genE9ELNS1_11target_archE1100ELNS1_3gpuE3ELNS1_3repE0EEENS1_30default_config_static_selectorELNS0_4arch9wavefront6targetE1EEEvSF_
	.p2align	8
	.type	_ZN7rocprim17ROCPRIM_400000_NS6detail17trampoline_kernelINS0_14default_configENS1_22reduce_config_selectorIfEEZNS1_11reduce_implILb1ES3_PfS7_fN6thrust23THRUST_200600_302600_NS4plusIfEEEE10hipError_tPvRmT1_T2_T3_mT4_P12ihipStream_tbEUlT_E1_NS1_11comp_targetILNS1_3genE9ELNS1_11target_archE1100ELNS1_3gpuE3ELNS1_3repE0EEENS1_30default_config_static_selectorELNS0_4arch9wavefront6targetE1EEEvSF_,@function
_ZN7rocprim17ROCPRIM_400000_NS6detail17trampoline_kernelINS0_14default_configENS1_22reduce_config_selectorIfEEZNS1_11reduce_implILb1ES3_PfS7_fN6thrust23THRUST_200600_302600_NS4plusIfEEEE10hipError_tPvRmT1_T2_T3_mT4_P12ihipStream_tbEUlT_E1_NS1_11comp_targetILNS1_3genE9ELNS1_11target_archE1100ELNS1_3gpuE3ELNS1_3repE0EEENS1_30default_config_static_selectorELNS0_4arch9wavefront6targetE1EEEvSF_: ; @_ZN7rocprim17ROCPRIM_400000_NS6detail17trampoline_kernelINS0_14default_configENS1_22reduce_config_selectorIfEEZNS1_11reduce_implILb1ES3_PfS7_fN6thrust23THRUST_200600_302600_NS4plusIfEEEE10hipError_tPvRmT1_T2_T3_mT4_P12ihipStream_tbEUlT_E1_NS1_11comp_targetILNS1_3genE9ELNS1_11target_archE1100ELNS1_3gpuE3ELNS1_3repE0EEENS1_30default_config_static_selectorELNS0_4arch9wavefront6targetE1EEEvSF_
; %bb.0:
	.section	.rodata,"a",@progbits
	.p2align	6, 0x0
	.amdhsa_kernel _ZN7rocprim17ROCPRIM_400000_NS6detail17trampoline_kernelINS0_14default_configENS1_22reduce_config_selectorIfEEZNS1_11reduce_implILb1ES3_PfS7_fN6thrust23THRUST_200600_302600_NS4plusIfEEEE10hipError_tPvRmT1_T2_T3_mT4_P12ihipStream_tbEUlT_E1_NS1_11comp_targetILNS1_3genE9ELNS1_11target_archE1100ELNS1_3gpuE3ELNS1_3repE0EEENS1_30default_config_static_selectorELNS0_4arch9wavefront6targetE1EEEvSF_
		.amdhsa_group_segment_fixed_size 0
		.amdhsa_private_segment_fixed_size 0
		.amdhsa_kernarg_size 40
		.amdhsa_user_sgpr_count 6
		.amdhsa_user_sgpr_private_segment_buffer 1
		.amdhsa_user_sgpr_dispatch_ptr 0
		.amdhsa_user_sgpr_queue_ptr 0
		.amdhsa_user_sgpr_kernarg_segment_ptr 1
		.amdhsa_user_sgpr_dispatch_id 0
		.amdhsa_user_sgpr_flat_scratch_init 0
		.amdhsa_user_sgpr_kernarg_preload_length 0
		.amdhsa_user_sgpr_kernarg_preload_offset 0
		.amdhsa_user_sgpr_private_segment_size 0
		.amdhsa_uses_dynamic_stack 0
		.amdhsa_system_sgpr_private_segment_wavefront_offset 0
		.amdhsa_system_sgpr_workgroup_id_x 1
		.amdhsa_system_sgpr_workgroup_id_y 0
		.amdhsa_system_sgpr_workgroup_id_z 0
		.amdhsa_system_sgpr_workgroup_info 0
		.amdhsa_system_vgpr_workitem_id 0
		.amdhsa_next_free_vgpr 1
		.amdhsa_next_free_sgpr 0
		.amdhsa_accum_offset 4
		.amdhsa_reserve_vcc 0
		.amdhsa_reserve_flat_scratch 0
		.amdhsa_float_round_mode_32 0
		.amdhsa_float_round_mode_16_64 0
		.amdhsa_float_denorm_mode_32 3
		.amdhsa_float_denorm_mode_16_64 3
		.amdhsa_dx10_clamp 1
		.amdhsa_ieee_mode 1
		.amdhsa_fp16_overflow 0
		.amdhsa_tg_split 0
		.amdhsa_exception_fp_ieee_invalid_op 0
		.amdhsa_exception_fp_denorm_src 0
		.amdhsa_exception_fp_ieee_div_zero 0
		.amdhsa_exception_fp_ieee_overflow 0
		.amdhsa_exception_fp_ieee_underflow 0
		.amdhsa_exception_fp_ieee_inexact 0
		.amdhsa_exception_int_div_zero 0
	.end_amdhsa_kernel
	.section	.text._ZN7rocprim17ROCPRIM_400000_NS6detail17trampoline_kernelINS0_14default_configENS1_22reduce_config_selectorIfEEZNS1_11reduce_implILb1ES3_PfS7_fN6thrust23THRUST_200600_302600_NS4plusIfEEEE10hipError_tPvRmT1_T2_T3_mT4_P12ihipStream_tbEUlT_E1_NS1_11comp_targetILNS1_3genE9ELNS1_11target_archE1100ELNS1_3gpuE3ELNS1_3repE0EEENS1_30default_config_static_selectorELNS0_4arch9wavefront6targetE1EEEvSF_,"axG",@progbits,_ZN7rocprim17ROCPRIM_400000_NS6detail17trampoline_kernelINS0_14default_configENS1_22reduce_config_selectorIfEEZNS1_11reduce_implILb1ES3_PfS7_fN6thrust23THRUST_200600_302600_NS4plusIfEEEE10hipError_tPvRmT1_T2_T3_mT4_P12ihipStream_tbEUlT_E1_NS1_11comp_targetILNS1_3genE9ELNS1_11target_archE1100ELNS1_3gpuE3ELNS1_3repE0EEENS1_30default_config_static_selectorELNS0_4arch9wavefront6targetE1EEEvSF_,comdat
.Lfunc_end16:
	.size	_ZN7rocprim17ROCPRIM_400000_NS6detail17trampoline_kernelINS0_14default_configENS1_22reduce_config_selectorIfEEZNS1_11reduce_implILb1ES3_PfS7_fN6thrust23THRUST_200600_302600_NS4plusIfEEEE10hipError_tPvRmT1_T2_T3_mT4_P12ihipStream_tbEUlT_E1_NS1_11comp_targetILNS1_3genE9ELNS1_11target_archE1100ELNS1_3gpuE3ELNS1_3repE0EEENS1_30default_config_static_selectorELNS0_4arch9wavefront6targetE1EEEvSF_, .Lfunc_end16-_ZN7rocprim17ROCPRIM_400000_NS6detail17trampoline_kernelINS0_14default_configENS1_22reduce_config_selectorIfEEZNS1_11reduce_implILb1ES3_PfS7_fN6thrust23THRUST_200600_302600_NS4plusIfEEEE10hipError_tPvRmT1_T2_T3_mT4_P12ihipStream_tbEUlT_E1_NS1_11comp_targetILNS1_3genE9ELNS1_11target_archE1100ELNS1_3gpuE3ELNS1_3repE0EEENS1_30default_config_static_selectorELNS0_4arch9wavefront6targetE1EEEvSF_
                                        ; -- End function
	.section	.AMDGPU.csdata,"",@progbits
; Kernel info:
; codeLenInByte = 0
; NumSgprs: 4
; NumVgprs: 0
; NumAgprs: 0
; TotalNumVgprs: 0
; ScratchSize: 0
; MemoryBound: 0
; FloatMode: 240
; IeeeMode: 1
; LDSByteSize: 0 bytes/workgroup (compile time only)
; SGPRBlocks: 0
; VGPRBlocks: 0
; NumSGPRsForWavesPerEU: 4
; NumVGPRsForWavesPerEU: 1
; AccumOffset: 4
; Occupancy: 8
; WaveLimiterHint : 0
; COMPUTE_PGM_RSRC2:SCRATCH_EN: 0
; COMPUTE_PGM_RSRC2:USER_SGPR: 6
; COMPUTE_PGM_RSRC2:TRAP_HANDLER: 0
; COMPUTE_PGM_RSRC2:TGID_X_EN: 1
; COMPUTE_PGM_RSRC2:TGID_Y_EN: 0
; COMPUTE_PGM_RSRC2:TGID_Z_EN: 0
; COMPUTE_PGM_RSRC2:TIDIG_COMP_CNT: 0
; COMPUTE_PGM_RSRC3_GFX90A:ACCUM_OFFSET: 0
; COMPUTE_PGM_RSRC3_GFX90A:TG_SPLIT: 0
	.section	.text._ZN7rocprim17ROCPRIM_400000_NS6detail17trampoline_kernelINS0_14default_configENS1_22reduce_config_selectorIfEEZNS1_11reduce_implILb1ES3_PfS7_fN6thrust23THRUST_200600_302600_NS4plusIfEEEE10hipError_tPvRmT1_T2_T3_mT4_P12ihipStream_tbEUlT_E1_NS1_11comp_targetILNS1_3genE8ELNS1_11target_archE1030ELNS1_3gpuE2ELNS1_3repE0EEENS1_30default_config_static_selectorELNS0_4arch9wavefront6targetE1EEEvSF_,"axG",@progbits,_ZN7rocprim17ROCPRIM_400000_NS6detail17trampoline_kernelINS0_14default_configENS1_22reduce_config_selectorIfEEZNS1_11reduce_implILb1ES3_PfS7_fN6thrust23THRUST_200600_302600_NS4plusIfEEEE10hipError_tPvRmT1_T2_T3_mT4_P12ihipStream_tbEUlT_E1_NS1_11comp_targetILNS1_3genE8ELNS1_11target_archE1030ELNS1_3gpuE2ELNS1_3repE0EEENS1_30default_config_static_selectorELNS0_4arch9wavefront6targetE1EEEvSF_,comdat
	.protected	_ZN7rocprim17ROCPRIM_400000_NS6detail17trampoline_kernelINS0_14default_configENS1_22reduce_config_selectorIfEEZNS1_11reduce_implILb1ES3_PfS7_fN6thrust23THRUST_200600_302600_NS4plusIfEEEE10hipError_tPvRmT1_T2_T3_mT4_P12ihipStream_tbEUlT_E1_NS1_11comp_targetILNS1_3genE8ELNS1_11target_archE1030ELNS1_3gpuE2ELNS1_3repE0EEENS1_30default_config_static_selectorELNS0_4arch9wavefront6targetE1EEEvSF_ ; -- Begin function _ZN7rocprim17ROCPRIM_400000_NS6detail17trampoline_kernelINS0_14default_configENS1_22reduce_config_selectorIfEEZNS1_11reduce_implILb1ES3_PfS7_fN6thrust23THRUST_200600_302600_NS4plusIfEEEE10hipError_tPvRmT1_T2_T3_mT4_P12ihipStream_tbEUlT_E1_NS1_11comp_targetILNS1_3genE8ELNS1_11target_archE1030ELNS1_3gpuE2ELNS1_3repE0EEENS1_30default_config_static_selectorELNS0_4arch9wavefront6targetE1EEEvSF_
	.globl	_ZN7rocprim17ROCPRIM_400000_NS6detail17trampoline_kernelINS0_14default_configENS1_22reduce_config_selectorIfEEZNS1_11reduce_implILb1ES3_PfS7_fN6thrust23THRUST_200600_302600_NS4plusIfEEEE10hipError_tPvRmT1_T2_T3_mT4_P12ihipStream_tbEUlT_E1_NS1_11comp_targetILNS1_3genE8ELNS1_11target_archE1030ELNS1_3gpuE2ELNS1_3repE0EEENS1_30default_config_static_selectorELNS0_4arch9wavefront6targetE1EEEvSF_
	.p2align	8
	.type	_ZN7rocprim17ROCPRIM_400000_NS6detail17trampoline_kernelINS0_14default_configENS1_22reduce_config_selectorIfEEZNS1_11reduce_implILb1ES3_PfS7_fN6thrust23THRUST_200600_302600_NS4plusIfEEEE10hipError_tPvRmT1_T2_T3_mT4_P12ihipStream_tbEUlT_E1_NS1_11comp_targetILNS1_3genE8ELNS1_11target_archE1030ELNS1_3gpuE2ELNS1_3repE0EEENS1_30default_config_static_selectorELNS0_4arch9wavefront6targetE1EEEvSF_,@function
_ZN7rocprim17ROCPRIM_400000_NS6detail17trampoline_kernelINS0_14default_configENS1_22reduce_config_selectorIfEEZNS1_11reduce_implILb1ES3_PfS7_fN6thrust23THRUST_200600_302600_NS4plusIfEEEE10hipError_tPvRmT1_T2_T3_mT4_P12ihipStream_tbEUlT_E1_NS1_11comp_targetILNS1_3genE8ELNS1_11target_archE1030ELNS1_3gpuE2ELNS1_3repE0EEENS1_30default_config_static_selectorELNS0_4arch9wavefront6targetE1EEEvSF_: ; @_ZN7rocprim17ROCPRIM_400000_NS6detail17trampoline_kernelINS0_14default_configENS1_22reduce_config_selectorIfEEZNS1_11reduce_implILb1ES3_PfS7_fN6thrust23THRUST_200600_302600_NS4plusIfEEEE10hipError_tPvRmT1_T2_T3_mT4_P12ihipStream_tbEUlT_E1_NS1_11comp_targetILNS1_3genE8ELNS1_11target_archE1030ELNS1_3gpuE2ELNS1_3repE0EEENS1_30default_config_static_selectorELNS0_4arch9wavefront6targetE1EEEvSF_
; %bb.0:
	.section	.rodata,"a",@progbits
	.p2align	6, 0x0
	.amdhsa_kernel _ZN7rocprim17ROCPRIM_400000_NS6detail17trampoline_kernelINS0_14default_configENS1_22reduce_config_selectorIfEEZNS1_11reduce_implILb1ES3_PfS7_fN6thrust23THRUST_200600_302600_NS4plusIfEEEE10hipError_tPvRmT1_T2_T3_mT4_P12ihipStream_tbEUlT_E1_NS1_11comp_targetILNS1_3genE8ELNS1_11target_archE1030ELNS1_3gpuE2ELNS1_3repE0EEENS1_30default_config_static_selectorELNS0_4arch9wavefront6targetE1EEEvSF_
		.amdhsa_group_segment_fixed_size 0
		.amdhsa_private_segment_fixed_size 0
		.amdhsa_kernarg_size 40
		.amdhsa_user_sgpr_count 6
		.amdhsa_user_sgpr_private_segment_buffer 1
		.amdhsa_user_sgpr_dispatch_ptr 0
		.amdhsa_user_sgpr_queue_ptr 0
		.amdhsa_user_sgpr_kernarg_segment_ptr 1
		.amdhsa_user_sgpr_dispatch_id 0
		.amdhsa_user_sgpr_flat_scratch_init 0
		.amdhsa_user_sgpr_kernarg_preload_length 0
		.amdhsa_user_sgpr_kernarg_preload_offset 0
		.amdhsa_user_sgpr_private_segment_size 0
		.amdhsa_uses_dynamic_stack 0
		.amdhsa_system_sgpr_private_segment_wavefront_offset 0
		.amdhsa_system_sgpr_workgroup_id_x 1
		.amdhsa_system_sgpr_workgroup_id_y 0
		.amdhsa_system_sgpr_workgroup_id_z 0
		.amdhsa_system_sgpr_workgroup_info 0
		.amdhsa_system_vgpr_workitem_id 0
		.amdhsa_next_free_vgpr 1
		.amdhsa_next_free_sgpr 0
		.amdhsa_accum_offset 4
		.amdhsa_reserve_vcc 0
		.amdhsa_reserve_flat_scratch 0
		.amdhsa_float_round_mode_32 0
		.amdhsa_float_round_mode_16_64 0
		.amdhsa_float_denorm_mode_32 3
		.amdhsa_float_denorm_mode_16_64 3
		.amdhsa_dx10_clamp 1
		.amdhsa_ieee_mode 1
		.amdhsa_fp16_overflow 0
		.amdhsa_tg_split 0
		.amdhsa_exception_fp_ieee_invalid_op 0
		.amdhsa_exception_fp_denorm_src 0
		.amdhsa_exception_fp_ieee_div_zero 0
		.amdhsa_exception_fp_ieee_overflow 0
		.amdhsa_exception_fp_ieee_underflow 0
		.amdhsa_exception_fp_ieee_inexact 0
		.amdhsa_exception_int_div_zero 0
	.end_amdhsa_kernel
	.section	.text._ZN7rocprim17ROCPRIM_400000_NS6detail17trampoline_kernelINS0_14default_configENS1_22reduce_config_selectorIfEEZNS1_11reduce_implILb1ES3_PfS7_fN6thrust23THRUST_200600_302600_NS4plusIfEEEE10hipError_tPvRmT1_T2_T3_mT4_P12ihipStream_tbEUlT_E1_NS1_11comp_targetILNS1_3genE8ELNS1_11target_archE1030ELNS1_3gpuE2ELNS1_3repE0EEENS1_30default_config_static_selectorELNS0_4arch9wavefront6targetE1EEEvSF_,"axG",@progbits,_ZN7rocprim17ROCPRIM_400000_NS6detail17trampoline_kernelINS0_14default_configENS1_22reduce_config_selectorIfEEZNS1_11reduce_implILb1ES3_PfS7_fN6thrust23THRUST_200600_302600_NS4plusIfEEEE10hipError_tPvRmT1_T2_T3_mT4_P12ihipStream_tbEUlT_E1_NS1_11comp_targetILNS1_3genE8ELNS1_11target_archE1030ELNS1_3gpuE2ELNS1_3repE0EEENS1_30default_config_static_selectorELNS0_4arch9wavefront6targetE1EEEvSF_,comdat
.Lfunc_end17:
	.size	_ZN7rocprim17ROCPRIM_400000_NS6detail17trampoline_kernelINS0_14default_configENS1_22reduce_config_selectorIfEEZNS1_11reduce_implILb1ES3_PfS7_fN6thrust23THRUST_200600_302600_NS4plusIfEEEE10hipError_tPvRmT1_T2_T3_mT4_P12ihipStream_tbEUlT_E1_NS1_11comp_targetILNS1_3genE8ELNS1_11target_archE1030ELNS1_3gpuE2ELNS1_3repE0EEENS1_30default_config_static_selectorELNS0_4arch9wavefront6targetE1EEEvSF_, .Lfunc_end17-_ZN7rocprim17ROCPRIM_400000_NS6detail17trampoline_kernelINS0_14default_configENS1_22reduce_config_selectorIfEEZNS1_11reduce_implILb1ES3_PfS7_fN6thrust23THRUST_200600_302600_NS4plusIfEEEE10hipError_tPvRmT1_T2_T3_mT4_P12ihipStream_tbEUlT_E1_NS1_11comp_targetILNS1_3genE8ELNS1_11target_archE1030ELNS1_3gpuE2ELNS1_3repE0EEENS1_30default_config_static_selectorELNS0_4arch9wavefront6targetE1EEEvSF_
                                        ; -- End function
	.section	.AMDGPU.csdata,"",@progbits
; Kernel info:
; codeLenInByte = 0
; NumSgprs: 4
; NumVgprs: 0
; NumAgprs: 0
; TotalNumVgprs: 0
; ScratchSize: 0
; MemoryBound: 0
; FloatMode: 240
; IeeeMode: 1
; LDSByteSize: 0 bytes/workgroup (compile time only)
; SGPRBlocks: 0
; VGPRBlocks: 0
; NumSGPRsForWavesPerEU: 4
; NumVGPRsForWavesPerEU: 1
; AccumOffset: 4
; Occupancy: 8
; WaveLimiterHint : 0
; COMPUTE_PGM_RSRC2:SCRATCH_EN: 0
; COMPUTE_PGM_RSRC2:USER_SGPR: 6
; COMPUTE_PGM_RSRC2:TRAP_HANDLER: 0
; COMPUTE_PGM_RSRC2:TGID_X_EN: 1
; COMPUTE_PGM_RSRC2:TGID_Y_EN: 0
; COMPUTE_PGM_RSRC2:TGID_Z_EN: 0
; COMPUTE_PGM_RSRC2:TIDIG_COMP_CNT: 0
; COMPUTE_PGM_RSRC3_GFX90A:ACCUM_OFFSET: 0
; COMPUTE_PGM_RSRC3_GFX90A:TG_SPLIT: 0
	.section	.text._ZN7rocprim17ROCPRIM_400000_NS6detail17trampoline_kernelINS0_14default_configENS1_22reduce_config_selectorIfEEZNS1_11reduce_implILb1ES3_N6thrust23THRUST_200600_302600_NS11hip_rocprim26transform_input_iterator_tIfNS8_17counting_iteratorIiNS8_11use_defaultESC_SC_EE11estimate_piEEPffNS8_4plusIfEEEE10hipError_tPvRmT1_T2_T3_mT4_P12ihipStream_tbEUlT_E0_NS1_11comp_targetILNS1_3genE0ELNS1_11target_archE4294967295ELNS1_3gpuE0ELNS1_3repE0EEENS1_30default_config_static_selectorELNS0_4arch9wavefront6targetE1EEEvSM_,"axG",@progbits,_ZN7rocprim17ROCPRIM_400000_NS6detail17trampoline_kernelINS0_14default_configENS1_22reduce_config_selectorIfEEZNS1_11reduce_implILb1ES3_N6thrust23THRUST_200600_302600_NS11hip_rocprim26transform_input_iterator_tIfNS8_17counting_iteratorIiNS8_11use_defaultESC_SC_EE11estimate_piEEPffNS8_4plusIfEEEE10hipError_tPvRmT1_T2_T3_mT4_P12ihipStream_tbEUlT_E0_NS1_11comp_targetILNS1_3genE0ELNS1_11target_archE4294967295ELNS1_3gpuE0ELNS1_3repE0EEENS1_30default_config_static_selectorELNS0_4arch9wavefront6targetE1EEEvSM_,comdat
	.protected	_ZN7rocprim17ROCPRIM_400000_NS6detail17trampoline_kernelINS0_14default_configENS1_22reduce_config_selectorIfEEZNS1_11reduce_implILb1ES3_N6thrust23THRUST_200600_302600_NS11hip_rocprim26transform_input_iterator_tIfNS8_17counting_iteratorIiNS8_11use_defaultESC_SC_EE11estimate_piEEPffNS8_4plusIfEEEE10hipError_tPvRmT1_T2_T3_mT4_P12ihipStream_tbEUlT_E0_NS1_11comp_targetILNS1_3genE0ELNS1_11target_archE4294967295ELNS1_3gpuE0ELNS1_3repE0EEENS1_30default_config_static_selectorELNS0_4arch9wavefront6targetE1EEEvSM_ ; -- Begin function _ZN7rocprim17ROCPRIM_400000_NS6detail17trampoline_kernelINS0_14default_configENS1_22reduce_config_selectorIfEEZNS1_11reduce_implILb1ES3_N6thrust23THRUST_200600_302600_NS11hip_rocprim26transform_input_iterator_tIfNS8_17counting_iteratorIiNS8_11use_defaultESC_SC_EE11estimate_piEEPffNS8_4plusIfEEEE10hipError_tPvRmT1_T2_T3_mT4_P12ihipStream_tbEUlT_E0_NS1_11comp_targetILNS1_3genE0ELNS1_11target_archE4294967295ELNS1_3gpuE0ELNS1_3repE0EEENS1_30default_config_static_selectorELNS0_4arch9wavefront6targetE1EEEvSM_
	.globl	_ZN7rocprim17ROCPRIM_400000_NS6detail17trampoline_kernelINS0_14default_configENS1_22reduce_config_selectorIfEEZNS1_11reduce_implILb1ES3_N6thrust23THRUST_200600_302600_NS11hip_rocprim26transform_input_iterator_tIfNS8_17counting_iteratorIiNS8_11use_defaultESC_SC_EE11estimate_piEEPffNS8_4plusIfEEEE10hipError_tPvRmT1_T2_T3_mT4_P12ihipStream_tbEUlT_E0_NS1_11comp_targetILNS1_3genE0ELNS1_11target_archE4294967295ELNS1_3gpuE0ELNS1_3repE0EEENS1_30default_config_static_selectorELNS0_4arch9wavefront6targetE1EEEvSM_
	.p2align	8
	.type	_ZN7rocprim17ROCPRIM_400000_NS6detail17trampoline_kernelINS0_14default_configENS1_22reduce_config_selectorIfEEZNS1_11reduce_implILb1ES3_N6thrust23THRUST_200600_302600_NS11hip_rocprim26transform_input_iterator_tIfNS8_17counting_iteratorIiNS8_11use_defaultESC_SC_EE11estimate_piEEPffNS8_4plusIfEEEE10hipError_tPvRmT1_T2_T3_mT4_P12ihipStream_tbEUlT_E0_NS1_11comp_targetILNS1_3genE0ELNS1_11target_archE4294967295ELNS1_3gpuE0ELNS1_3repE0EEENS1_30default_config_static_selectorELNS0_4arch9wavefront6targetE1EEEvSM_,@function
_ZN7rocprim17ROCPRIM_400000_NS6detail17trampoline_kernelINS0_14default_configENS1_22reduce_config_selectorIfEEZNS1_11reduce_implILb1ES3_N6thrust23THRUST_200600_302600_NS11hip_rocprim26transform_input_iterator_tIfNS8_17counting_iteratorIiNS8_11use_defaultESC_SC_EE11estimate_piEEPffNS8_4plusIfEEEE10hipError_tPvRmT1_T2_T3_mT4_P12ihipStream_tbEUlT_E0_NS1_11comp_targetILNS1_3genE0ELNS1_11target_archE4294967295ELNS1_3gpuE0ELNS1_3repE0EEENS1_30default_config_static_selectorELNS0_4arch9wavefront6targetE1EEEvSM_: ; @_ZN7rocprim17ROCPRIM_400000_NS6detail17trampoline_kernelINS0_14default_configENS1_22reduce_config_selectorIfEEZNS1_11reduce_implILb1ES3_N6thrust23THRUST_200600_302600_NS11hip_rocprim26transform_input_iterator_tIfNS8_17counting_iteratorIiNS8_11use_defaultESC_SC_EE11estimate_piEEPffNS8_4plusIfEEEE10hipError_tPvRmT1_T2_T3_mT4_P12ihipStream_tbEUlT_E0_NS1_11comp_targetILNS1_3genE0ELNS1_11target_archE4294967295ELNS1_3gpuE0ELNS1_3repE0EEENS1_30default_config_static_selectorELNS0_4arch9wavefront6targetE1EEEvSM_
; %bb.0:
	.section	.rodata,"a",@progbits
	.p2align	6, 0x0
	.amdhsa_kernel _ZN7rocprim17ROCPRIM_400000_NS6detail17trampoline_kernelINS0_14default_configENS1_22reduce_config_selectorIfEEZNS1_11reduce_implILb1ES3_N6thrust23THRUST_200600_302600_NS11hip_rocprim26transform_input_iterator_tIfNS8_17counting_iteratorIiNS8_11use_defaultESC_SC_EE11estimate_piEEPffNS8_4plusIfEEEE10hipError_tPvRmT1_T2_T3_mT4_P12ihipStream_tbEUlT_E0_NS1_11comp_targetILNS1_3genE0ELNS1_11target_archE4294967295ELNS1_3gpuE0ELNS1_3repE0EEENS1_30default_config_static_selectorELNS0_4arch9wavefront6targetE1EEEvSM_
		.amdhsa_group_segment_fixed_size 0
		.amdhsa_private_segment_fixed_size 0
		.amdhsa_kernarg_size 56
		.amdhsa_user_sgpr_count 6
		.amdhsa_user_sgpr_private_segment_buffer 1
		.amdhsa_user_sgpr_dispatch_ptr 0
		.amdhsa_user_sgpr_queue_ptr 0
		.amdhsa_user_sgpr_kernarg_segment_ptr 1
		.amdhsa_user_sgpr_dispatch_id 0
		.amdhsa_user_sgpr_flat_scratch_init 0
		.amdhsa_user_sgpr_kernarg_preload_length 0
		.amdhsa_user_sgpr_kernarg_preload_offset 0
		.amdhsa_user_sgpr_private_segment_size 0
		.amdhsa_uses_dynamic_stack 0
		.amdhsa_system_sgpr_private_segment_wavefront_offset 0
		.amdhsa_system_sgpr_workgroup_id_x 1
		.amdhsa_system_sgpr_workgroup_id_y 0
		.amdhsa_system_sgpr_workgroup_id_z 0
		.amdhsa_system_sgpr_workgroup_info 0
		.amdhsa_system_vgpr_workitem_id 0
		.amdhsa_next_free_vgpr 1
		.amdhsa_next_free_sgpr 0
		.amdhsa_accum_offset 4
		.amdhsa_reserve_vcc 0
		.amdhsa_reserve_flat_scratch 0
		.amdhsa_float_round_mode_32 0
		.amdhsa_float_round_mode_16_64 0
		.amdhsa_float_denorm_mode_32 3
		.amdhsa_float_denorm_mode_16_64 3
		.amdhsa_dx10_clamp 1
		.amdhsa_ieee_mode 1
		.amdhsa_fp16_overflow 0
		.amdhsa_tg_split 0
		.amdhsa_exception_fp_ieee_invalid_op 0
		.amdhsa_exception_fp_denorm_src 0
		.amdhsa_exception_fp_ieee_div_zero 0
		.amdhsa_exception_fp_ieee_overflow 0
		.amdhsa_exception_fp_ieee_underflow 0
		.amdhsa_exception_fp_ieee_inexact 0
		.amdhsa_exception_int_div_zero 0
	.end_amdhsa_kernel
	.section	.text._ZN7rocprim17ROCPRIM_400000_NS6detail17trampoline_kernelINS0_14default_configENS1_22reduce_config_selectorIfEEZNS1_11reduce_implILb1ES3_N6thrust23THRUST_200600_302600_NS11hip_rocprim26transform_input_iterator_tIfNS8_17counting_iteratorIiNS8_11use_defaultESC_SC_EE11estimate_piEEPffNS8_4plusIfEEEE10hipError_tPvRmT1_T2_T3_mT4_P12ihipStream_tbEUlT_E0_NS1_11comp_targetILNS1_3genE0ELNS1_11target_archE4294967295ELNS1_3gpuE0ELNS1_3repE0EEENS1_30default_config_static_selectorELNS0_4arch9wavefront6targetE1EEEvSM_,"axG",@progbits,_ZN7rocprim17ROCPRIM_400000_NS6detail17trampoline_kernelINS0_14default_configENS1_22reduce_config_selectorIfEEZNS1_11reduce_implILb1ES3_N6thrust23THRUST_200600_302600_NS11hip_rocprim26transform_input_iterator_tIfNS8_17counting_iteratorIiNS8_11use_defaultESC_SC_EE11estimate_piEEPffNS8_4plusIfEEEE10hipError_tPvRmT1_T2_T3_mT4_P12ihipStream_tbEUlT_E0_NS1_11comp_targetILNS1_3genE0ELNS1_11target_archE4294967295ELNS1_3gpuE0ELNS1_3repE0EEENS1_30default_config_static_selectorELNS0_4arch9wavefront6targetE1EEEvSM_,comdat
.Lfunc_end18:
	.size	_ZN7rocprim17ROCPRIM_400000_NS6detail17trampoline_kernelINS0_14default_configENS1_22reduce_config_selectorIfEEZNS1_11reduce_implILb1ES3_N6thrust23THRUST_200600_302600_NS11hip_rocprim26transform_input_iterator_tIfNS8_17counting_iteratorIiNS8_11use_defaultESC_SC_EE11estimate_piEEPffNS8_4plusIfEEEE10hipError_tPvRmT1_T2_T3_mT4_P12ihipStream_tbEUlT_E0_NS1_11comp_targetILNS1_3genE0ELNS1_11target_archE4294967295ELNS1_3gpuE0ELNS1_3repE0EEENS1_30default_config_static_selectorELNS0_4arch9wavefront6targetE1EEEvSM_, .Lfunc_end18-_ZN7rocprim17ROCPRIM_400000_NS6detail17trampoline_kernelINS0_14default_configENS1_22reduce_config_selectorIfEEZNS1_11reduce_implILb1ES3_N6thrust23THRUST_200600_302600_NS11hip_rocprim26transform_input_iterator_tIfNS8_17counting_iteratorIiNS8_11use_defaultESC_SC_EE11estimate_piEEPffNS8_4plusIfEEEE10hipError_tPvRmT1_T2_T3_mT4_P12ihipStream_tbEUlT_E0_NS1_11comp_targetILNS1_3genE0ELNS1_11target_archE4294967295ELNS1_3gpuE0ELNS1_3repE0EEENS1_30default_config_static_selectorELNS0_4arch9wavefront6targetE1EEEvSM_
                                        ; -- End function
	.section	.AMDGPU.csdata,"",@progbits
; Kernel info:
; codeLenInByte = 0
; NumSgprs: 4
; NumVgprs: 0
; NumAgprs: 0
; TotalNumVgprs: 0
; ScratchSize: 0
; MemoryBound: 0
; FloatMode: 240
; IeeeMode: 1
; LDSByteSize: 0 bytes/workgroup (compile time only)
; SGPRBlocks: 0
; VGPRBlocks: 0
; NumSGPRsForWavesPerEU: 4
; NumVGPRsForWavesPerEU: 1
; AccumOffset: 4
; Occupancy: 8
; WaveLimiterHint : 0
; COMPUTE_PGM_RSRC2:SCRATCH_EN: 0
; COMPUTE_PGM_RSRC2:USER_SGPR: 6
; COMPUTE_PGM_RSRC2:TRAP_HANDLER: 0
; COMPUTE_PGM_RSRC2:TGID_X_EN: 1
; COMPUTE_PGM_RSRC2:TGID_Y_EN: 0
; COMPUTE_PGM_RSRC2:TGID_Z_EN: 0
; COMPUTE_PGM_RSRC2:TIDIG_COMP_CNT: 0
; COMPUTE_PGM_RSRC3_GFX90A:ACCUM_OFFSET: 0
; COMPUTE_PGM_RSRC3_GFX90A:TG_SPLIT: 0
	.section	.text._ZN7rocprim17ROCPRIM_400000_NS6detail17trampoline_kernelINS0_14default_configENS1_22reduce_config_selectorIfEEZNS1_11reduce_implILb1ES3_N6thrust23THRUST_200600_302600_NS11hip_rocprim26transform_input_iterator_tIfNS8_17counting_iteratorIiNS8_11use_defaultESC_SC_EE11estimate_piEEPffNS8_4plusIfEEEE10hipError_tPvRmT1_T2_T3_mT4_P12ihipStream_tbEUlT_E0_NS1_11comp_targetILNS1_3genE5ELNS1_11target_archE942ELNS1_3gpuE9ELNS1_3repE0EEENS1_30default_config_static_selectorELNS0_4arch9wavefront6targetE1EEEvSM_,"axG",@progbits,_ZN7rocprim17ROCPRIM_400000_NS6detail17trampoline_kernelINS0_14default_configENS1_22reduce_config_selectorIfEEZNS1_11reduce_implILb1ES3_N6thrust23THRUST_200600_302600_NS11hip_rocprim26transform_input_iterator_tIfNS8_17counting_iteratorIiNS8_11use_defaultESC_SC_EE11estimate_piEEPffNS8_4plusIfEEEE10hipError_tPvRmT1_T2_T3_mT4_P12ihipStream_tbEUlT_E0_NS1_11comp_targetILNS1_3genE5ELNS1_11target_archE942ELNS1_3gpuE9ELNS1_3repE0EEENS1_30default_config_static_selectorELNS0_4arch9wavefront6targetE1EEEvSM_,comdat
	.protected	_ZN7rocprim17ROCPRIM_400000_NS6detail17trampoline_kernelINS0_14default_configENS1_22reduce_config_selectorIfEEZNS1_11reduce_implILb1ES3_N6thrust23THRUST_200600_302600_NS11hip_rocprim26transform_input_iterator_tIfNS8_17counting_iteratorIiNS8_11use_defaultESC_SC_EE11estimate_piEEPffNS8_4plusIfEEEE10hipError_tPvRmT1_T2_T3_mT4_P12ihipStream_tbEUlT_E0_NS1_11comp_targetILNS1_3genE5ELNS1_11target_archE942ELNS1_3gpuE9ELNS1_3repE0EEENS1_30default_config_static_selectorELNS0_4arch9wavefront6targetE1EEEvSM_ ; -- Begin function _ZN7rocprim17ROCPRIM_400000_NS6detail17trampoline_kernelINS0_14default_configENS1_22reduce_config_selectorIfEEZNS1_11reduce_implILb1ES3_N6thrust23THRUST_200600_302600_NS11hip_rocprim26transform_input_iterator_tIfNS8_17counting_iteratorIiNS8_11use_defaultESC_SC_EE11estimate_piEEPffNS8_4plusIfEEEE10hipError_tPvRmT1_T2_T3_mT4_P12ihipStream_tbEUlT_E0_NS1_11comp_targetILNS1_3genE5ELNS1_11target_archE942ELNS1_3gpuE9ELNS1_3repE0EEENS1_30default_config_static_selectorELNS0_4arch9wavefront6targetE1EEEvSM_
	.globl	_ZN7rocprim17ROCPRIM_400000_NS6detail17trampoline_kernelINS0_14default_configENS1_22reduce_config_selectorIfEEZNS1_11reduce_implILb1ES3_N6thrust23THRUST_200600_302600_NS11hip_rocprim26transform_input_iterator_tIfNS8_17counting_iteratorIiNS8_11use_defaultESC_SC_EE11estimate_piEEPffNS8_4plusIfEEEE10hipError_tPvRmT1_T2_T3_mT4_P12ihipStream_tbEUlT_E0_NS1_11comp_targetILNS1_3genE5ELNS1_11target_archE942ELNS1_3gpuE9ELNS1_3repE0EEENS1_30default_config_static_selectorELNS0_4arch9wavefront6targetE1EEEvSM_
	.p2align	8
	.type	_ZN7rocprim17ROCPRIM_400000_NS6detail17trampoline_kernelINS0_14default_configENS1_22reduce_config_selectorIfEEZNS1_11reduce_implILb1ES3_N6thrust23THRUST_200600_302600_NS11hip_rocprim26transform_input_iterator_tIfNS8_17counting_iteratorIiNS8_11use_defaultESC_SC_EE11estimate_piEEPffNS8_4plusIfEEEE10hipError_tPvRmT1_T2_T3_mT4_P12ihipStream_tbEUlT_E0_NS1_11comp_targetILNS1_3genE5ELNS1_11target_archE942ELNS1_3gpuE9ELNS1_3repE0EEENS1_30default_config_static_selectorELNS0_4arch9wavefront6targetE1EEEvSM_,@function
_ZN7rocprim17ROCPRIM_400000_NS6detail17trampoline_kernelINS0_14default_configENS1_22reduce_config_selectorIfEEZNS1_11reduce_implILb1ES3_N6thrust23THRUST_200600_302600_NS11hip_rocprim26transform_input_iterator_tIfNS8_17counting_iteratorIiNS8_11use_defaultESC_SC_EE11estimate_piEEPffNS8_4plusIfEEEE10hipError_tPvRmT1_T2_T3_mT4_P12ihipStream_tbEUlT_E0_NS1_11comp_targetILNS1_3genE5ELNS1_11target_archE942ELNS1_3gpuE9ELNS1_3repE0EEENS1_30default_config_static_selectorELNS0_4arch9wavefront6targetE1EEEvSM_: ; @_ZN7rocprim17ROCPRIM_400000_NS6detail17trampoline_kernelINS0_14default_configENS1_22reduce_config_selectorIfEEZNS1_11reduce_implILb1ES3_N6thrust23THRUST_200600_302600_NS11hip_rocprim26transform_input_iterator_tIfNS8_17counting_iteratorIiNS8_11use_defaultESC_SC_EE11estimate_piEEPffNS8_4plusIfEEEE10hipError_tPvRmT1_T2_T3_mT4_P12ihipStream_tbEUlT_E0_NS1_11comp_targetILNS1_3genE5ELNS1_11target_archE942ELNS1_3gpuE9ELNS1_3repE0EEENS1_30default_config_static_selectorELNS0_4arch9wavefront6targetE1EEEvSM_
; %bb.0:
	.section	.rodata,"a",@progbits
	.p2align	6, 0x0
	.amdhsa_kernel _ZN7rocprim17ROCPRIM_400000_NS6detail17trampoline_kernelINS0_14default_configENS1_22reduce_config_selectorIfEEZNS1_11reduce_implILb1ES3_N6thrust23THRUST_200600_302600_NS11hip_rocprim26transform_input_iterator_tIfNS8_17counting_iteratorIiNS8_11use_defaultESC_SC_EE11estimate_piEEPffNS8_4plusIfEEEE10hipError_tPvRmT1_T2_T3_mT4_P12ihipStream_tbEUlT_E0_NS1_11comp_targetILNS1_3genE5ELNS1_11target_archE942ELNS1_3gpuE9ELNS1_3repE0EEENS1_30default_config_static_selectorELNS0_4arch9wavefront6targetE1EEEvSM_
		.amdhsa_group_segment_fixed_size 0
		.amdhsa_private_segment_fixed_size 0
		.amdhsa_kernarg_size 56
		.amdhsa_user_sgpr_count 6
		.amdhsa_user_sgpr_private_segment_buffer 1
		.amdhsa_user_sgpr_dispatch_ptr 0
		.amdhsa_user_sgpr_queue_ptr 0
		.amdhsa_user_sgpr_kernarg_segment_ptr 1
		.amdhsa_user_sgpr_dispatch_id 0
		.amdhsa_user_sgpr_flat_scratch_init 0
		.amdhsa_user_sgpr_kernarg_preload_length 0
		.amdhsa_user_sgpr_kernarg_preload_offset 0
		.amdhsa_user_sgpr_private_segment_size 0
		.amdhsa_uses_dynamic_stack 0
		.amdhsa_system_sgpr_private_segment_wavefront_offset 0
		.amdhsa_system_sgpr_workgroup_id_x 1
		.amdhsa_system_sgpr_workgroup_id_y 0
		.amdhsa_system_sgpr_workgroup_id_z 0
		.amdhsa_system_sgpr_workgroup_info 0
		.amdhsa_system_vgpr_workitem_id 0
		.amdhsa_next_free_vgpr 1
		.amdhsa_next_free_sgpr 0
		.amdhsa_accum_offset 4
		.amdhsa_reserve_vcc 0
		.amdhsa_reserve_flat_scratch 0
		.amdhsa_float_round_mode_32 0
		.amdhsa_float_round_mode_16_64 0
		.amdhsa_float_denorm_mode_32 3
		.amdhsa_float_denorm_mode_16_64 3
		.amdhsa_dx10_clamp 1
		.amdhsa_ieee_mode 1
		.amdhsa_fp16_overflow 0
		.amdhsa_tg_split 0
		.amdhsa_exception_fp_ieee_invalid_op 0
		.amdhsa_exception_fp_denorm_src 0
		.amdhsa_exception_fp_ieee_div_zero 0
		.amdhsa_exception_fp_ieee_overflow 0
		.amdhsa_exception_fp_ieee_underflow 0
		.amdhsa_exception_fp_ieee_inexact 0
		.amdhsa_exception_int_div_zero 0
	.end_amdhsa_kernel
	.section	.text._ZN7rocprim17ROCPRIM_400000_NS6detail17trampoline_kernelINS0_14default_configENS1_22reduce_config_selectorIfEEZNS1_11reduce_implILb1ES3_N6thrust23THRUST_200600_302600_NS11hip_rocprim26transform_input_iterator_tIfNS8_17counting_iteratorIiNS8_11use_defaultESC_SC_EE11estimate_piEEPffNS8_4plusIfEEEE10hipError_tPvRmT1_T2_T3_mT4_P12ihipStream_tbEUlT_E0_NS1_11comp_targetILNS1_3genE5ELNS1_11target_archE942ELNS1_3gpuE9ELNS1_3repE0EEENS1_30default_config_static_selectorELNS0_4arch9wavefront6targetE1EEEvSM_,"axG",@progbits,_ZN7rocprim17ROCPRIM_400000_NS6detail17trampoline_kernelINS0_14default_configENS1_22reduce_config_selectorIfEEZNS1_11reduce_implILb1ES3_N6thrust23THRUST_200600_302600_NS11hip_rocprim26transform_input_iterator_tIfNS8_17counting_iteratorIiNS8_11use_defaultESC_SC_EE11estimate_piEEPffNS8_4plusIfEEEE10hipError_tPvRmT1_T2_T3_mT4_P12ihipStream_tbEUlT_E0_NS1_11comp_targetILNS1_3genE5ELNS1_11target_archE942ELNS1_3gpuE9ELNS1_3repE0EEENS1_30default_config_static_selectorELNS0_4arch9wavefront6targetE1EEEvSM_,comdat
.Lfunc_end19:
	.size	_ZN7rocprim17ROCPRIM_400000_NS6detail17trampoline_kernelINS0_14default_configENS1_22reduce_config_selectorIfEEZNS1_11reduce_implILb1ES3_N6thrust23THRUST_200600_302600_NS11hip_rocprim26transform_input_iterator_tIfNS8_17counting_iteratorIiNS8_11use_defaultESC_SC_EE11estimate_piEEPffNS8_4plusIfEEEE10hipError_tPvRmT1_T2_T3_mT4_P12ihipStream_tbEUlT_E0_NS1_11comp_targetILNS1_3genE5ELNS1_11target_archE942ELNS1_3gpuE9ELNS1_3repE0EEENS1_30default_config_static_selectorELNS0_4arch9wavefront6targetE1EEEvSM_, .Lfunc_end19-_ZN7rocprim17ROCPRIM_400000_NS6detail17trampoline_kernelINS0_14default_configENS1_22reduce_config_selectorIfEEZNS1_11reduce_implILb1ES3_N6thrust23THRUST_200600_302600_NS11hip_rocprim26transform_input_iterator_tIfNS8_17counting_iteratorIiNS8_11use_defaultESC_SC_EE11estimate_piEEPffNS8_4plusIfEEEE10hipError_tPvRmT1_T2_T3_mT4_P12ihipStream_tbEUlT_E0_NS1_11comp_targetILNS1_3genE5ELNS1_11target_archE942ELNS1_3gpuE9ELNS1_3repE0EEENS1_30default_config_static_selectorELNS0_4arch9wavefront6targetE1EEEvSM_
                                        ; -- End function
	.section	.AMDGPU.csdata,"",@progbits
; Kernel info:
; codeLenInByte = 0
; NumSgprs: 4
; NumVgprs: 0
; NumAgprs: 0
; TotalNumVgprs: 0
; ScratchSize: 0
; MemoryBound: 0
; FloatMode: 240
; IeeeMode: 1
; LDSByteSize: 0 bytes/workgroup (compile time only)
; SGPRBlocks: 0
; VGPRBlocks: 0
; NumSGPRsForWavesPerEU: 4
; NumVGPRsForWavesPerEU: 1
; AccumOffset: 4
; Occupancy: 8
; WaveLimiterHint : 0
; COMPUTE_PGM_RSRC2:SCRATCH_EN: 0
; COMPUTE_PGM_RSRC2:USER_SGPR: 6
; COMPUTE_PGM_RSRC2:TRAP_HANDLER: 0
; COMPUTE_PGM_RSRC2:TGID_X_EN: 1
; COMPUTE_PGM_RSRC2:TGID_Y_EN: 0
; COMPUTE_PGM_RSRC2:TGID_Z_EN: 0
; COMPUTE_PGM_RSRC2:TIDIG_COMP_CNT: 0
; COMPUTE_PGM_RSRC3_GFX90A:ACCUM_OFFSET: 0
; COMPUTE_PGM_RSRC3_GFX90A:TG_SPLIT: 0
	.section	.text._ZN7rocprim17ROCPRIM_400000_NS6detail17trampoline_kernelINS0_14default_configENS1_22reduce_config_selectorIfEEZNS1_11reduce_implILb1ES3_N6thrust23THRUST_200600_302600_NS11hip_rocprim26transform_input_iterator_tIfNS8_17counting_iteratorIiNS8_11use_defaultESC_SC_EE11estimate_piEEPffNS8_4plusIfEEEE10hipError_tPvRmT1_T2_T3_mT4_P12ihipStream_tbEUlT_E0_NS1_11comp_targetILNS1_3genE4ELNS1_11target_archE910ELNS1_3gpuE8ELNS1_3repE0EEENS1_30default_config_static_selectorELNS0_4arch9wavefront6targetE1EEEvSM_,"axG",@progbits,_ZN7rocprim17ROCPRIM_400000_NS6detail17trampoline_kernelINS0_14default_configENS1_22reduce_config_selectorIfEEZNS1_11reduce_implILb1ES3_N6thrust23THRUST_200600_302600_NS11hip_rocprim26transform_input_iterator_tIfNS8_17counting_iteratorIiNS8_11use_defaultESC_SC_EE11estimate_piEEPffNS8_4plusIfEEEE10hipError_tPvRmT1_T2_T3_mT4_P12ihipStream_tbEUlT_E0_NS1_11comp_targetILNS1_3genE4ELNS1_11target_archE910ELNS1_3gpuE8ELNS1_3repE0EEENS1_30default_config_static_selectorELNS0_4arch9wavefront6targetE1EEEvSM_,comdat
	.protected	_ZN7rocprim17ROCPRIM_400000_NS6detail17trampoline_kernelINS0_14default_configENS1_22reduce_config_selectorIfEEZNS1_11reduce_implILb1ES3_N6thrust23THRUST_200600_302600_NS11hip_rocprim26transform_input_iterator_tIfNS8_17counting_iteratorIiNS8_11use_defaultESC_SC_EE11estimate_piEEPffNS8_4plusIfEEEE10hipError_tPvRmT1_T2_T3_mT4_P12ihipStream_tbEUlT_E0_NS1_11comp_targetILNS1_3genE4ELNS1_11target_archE910ELNS1_3gpuE8ELNS1_3repE0EEENS1_30default_config_static_selectorELNS0_4arch9wavefront6targetE1EEEvSM_ ; -- Begin function _ZN7rocprim17ROCPRIM_400000_NS6detail17trampoline_kernelINS0_14default_configENS1_22reduce_config_selectorIfEEZNS1_11reduce_implILb1ES3_N6thrust23THRUST_200600_302600_NS11hip_rocprim26transform_input_iterator_tIfNS8_17counting_iteratorIiNS8_11use_defaultESC_SC_EE11estimate_piEEPffNS8_4plusIfEEEE10hipError_tPvRmT1_T2_T3_mT4_P12ihipStream_tbEUlT_E0_NS1_11comp_targetILNS1_3genE4ELNS1_11target_archE910ELNS1_3gpuE8ELNS1_3repE0EEENS1_30default_config_static_selectorELNS0_4arch9wavefront6targetE1EEEvSM_
	.globl	_ZN7rocprim17ROCPRIM_400000_NS6detail17trampoline_kernelINS0_14default_configENS1_22reduce_config_selectorIfEEZNS1_11reduce_implILb1ES3_N6thrust23THRUST_200600_302600_NS11hip_rocprim26transform_input_iterator_tIfNS8_17counting_iteratorIiNS8_11use_defaultESC_SC_EE11estimate_piEEPffNS8_4plusIfEEEE10hipError_tPvRmT1_T2_T3_mT4_P12ihipStream_tbEUlT_E0_NS1_11comp_targetILNS1_3genE4ELNS1_11target_archE910ELNS1_3gpuE8ELNS1_3repE0EEENS1_30default_config_static_selectorELNS0_4arch9wavefront6targetE1EEEvSM_
	.p2align	8
	.type	_ZN7rocprim17ROCPRIM_400000_NS6detail17trampoline_kernelINS0_14default_configENS1_22reduce_config_selectorIfEEZNS1_11reduce_implILb1ES3_N6thrust23THRUST_200600_302600_NS11hip_rocprim26transform_input_iterator_tIfNS8_17counting_iteratorIiNS8_11use_defaultESC_SC_EE11estimate_piEEPffNS8_4plusIfEEEE10hipError_tPvRmT1_T2_T3_mT4_P12ihipStream_tbEUlT_E0_NS1_11comp_targetILNS1_3genE4ELNS1_11target_archE910ELNS1_3gpuE8ELNS1_3repE0EEENS1_30default_config_static_selectorELNS0_4arch9wavefront6targetE1EEEvSM_,@function
_ZN7rocprim17ROCPRIM_400000_NS6detail17trampoline_kernelINS0_14default_configENS1_22reduce_config_selectorIfEEZNS1_11reduce_implILb1ES3_N6thrust23THRUST_200600_302600_NS11hip_rocprim26transform_input_iterator_tIfNS8_17counting_iteratorIiNS8_11use_defaultESC_SC_EE11estimate_piEEPffNS8_4plusIfEEEE10hipError_tPvRmT1_T2_T3_mT4_P12ihipStream_tbEUlT_E0_NS1_11comp_targetILNS1_3genE4ELNS1_11target_archE910ELNS1_3gpuE8ELNS1_3repE0EEENS1_30default_config_static_selectorELNS0_4arch9wavefront6targetE1EEEvSM_: ; @_ZN7rocprim17ROCPRIM_400000_NS6detail17trampoline_kernelINS0_14default_configENS1_22reduce_config_selectorIfEEZNS1_11reduce_implILb1ES3_N6thrust23THRUST_200600_302600_NS11hip_rocprim26transform_input_iterator_tIfNS8_17counting_iteratorIiNS8_11use_defaultESC_SC_EE11estimate_piEEPffNS8_4plusIfEEEE10hipError_tPvRmT1_T2_T3_mT4_P12ihipStream_tbEUlT_E0_NS1_11comp_targetILNS1_3genE4ELNS1_11target_archE910ELNS1_3gpuE8ELNS1_3repE0EEENS1_30default_config_static_selectorELNS0_4arch9wavefront6targetE1EEEvSM_
; %bb.0:
	s_load_dwordx8 s[16:23], s[4:5], 0x8
	s_load_dword s3, s[4:5], 0x0
	s_load_dwordx2 s[24:25], s[4:5], 0x28
	s_lshl_b32 s2, s6, 10
	s_mov_b32 s7, 0
	s_waitcnt lgkmcnt(0)
	s_lshr_b64 s[0:1], s[18:19], 10
	s_add_i32 s28, s3, s2
	s_add_i32 s28, s28, s16
	s_cmp_lg_u64 s[0:1], s[6:7]
	s_cbranch_scc0 .LBB20_22
; %bb.1:
	v_add_u32_e32 v2, s28, v0
	v_lshlrev_b32_e32 v1, 12, v2
	s_mov_b32 s0, 0x7ed55d16
	v_add3_u32 v1, v2, v1, s0
	v_lshrrev_b32_e32 v3, 19, v1
	v_xor_b32_e32 v1, v1, v3
	v_xor_b32_e32 v1, 0xc761c23c, v1
	v_lshl_add_u32 v1, v1, 5, v1
	v_mov_b32_e32 v4, 0xaccf6200
	v_add_u32_e32 v3, 0xe9f8cc1d, v1
	v_lshl_add_u32 v1, v1, 9, v4
	v_xor_b32_e32 v1, v3, v1
	v_lshlrev_b32_e32 v3, 3, v1
	s_mov_b32 s0, 0xfd7046c5
	v_add3_u32 v1, v1, v3, s0
	v_xor_b32_sdwa v1, v1, v1 dst_sel:DWORD dst_unused:UNUSED_PAD src0_sel:DWORD src1_sel:WORD_1
	v_xor_b32_e32 v1, 0xb55a4f09, v1
	v_mul_hi_u32 v3, v1, 3
	v_sub_u32_e32 v4, v1, v3
	v_lshrrev_b32_e32 v4, 1, v4
	v_add_u32_e32 v3, v4, v3
	v_lshrrev_b32_e32 v3, 30, v3
	s_brev_b32 s0, -2
	v_mul_lo_u32 v3, v3, s0
	v_sub_u32_e32 v1, v1, v3
	v_max_u32_e32 v4, 1, v1
	s_movk_i32 s3, 0x2710
	v_mov_b32_e32 v1, 0
	s_mov_b32 s8, 0xbc8f1391
	s_mov_b32 s9, 0xbc8f
	s_brev_b32 s10, 12
	s_mov_b32 s11, 0xf800000
	v_mov_b32_e32 v3, 0x260
.LBB20_2:                               ; =>This Inner Loop Header: Depth=1
	v_mul_hi_u32 v5, v4, s8
	v_lshrrev_b32_e32 v5, 15, v5
	v_mul_u32_u24_e32 v7, 0xadc8, v5
	v_sub_u32_e32 v4, v4, v7
	v_mul_u32_u24_e32 v5, 0xd47, v5
	v_mul_lo_u32 v4, v4, s9
	v_xor_b32_e32 v7, 0x7fffffff, v5
	v_sub_u32_e32 v8, 0, v5
	v_cmp_lt_u32_e32 vcc, v4, v5
	v_cndmask_b32_e32 v5, v8, v7, vcc
	v_add_u32_e32 v4, v5, v4
	v_mul_hi_u32 v7, v4, s8
	v_lshrrev_b32_e32 v7, 15, v7
	v_mul_u32_u24_e32 v8, 0xadc8, v7
	v_add_u32_e32 v5, -1, v4
	v_sub_u32_e32 v4, v4, v8
	v_mul_u32_u24_e32 v7, 0xd47, v7
	v_mul_lo_u32 v4, v4, s9
	v_xor_b32_e32 v8, 0x7fffffff, v7
	v_sub_u32_e32 v9, 0, v7
	v_cmp_lt_u32_e32 vcc, v4, v7
	v_cndmask_b32_e32 v7, v9, v8, vcc
	v_add_u32_e32 v4, v7, v4
	v_mul_hi_u32 v8, v4, s8
	v_add_u32_e32 v7, -1, v4
	v_lshrrev_b32_e32 v8, 15, v8
	v_cvt_f32_u32_e32 v7, v7
	v_mul_u32_u24_e32 v9, 0xadc8, v8
	v_cvt_f32_u32_e32 v5, v5
	v_sub_u32_e32 v4, v4, v9
	v_mul_u32_u24_e32 v8, 0xd47, v8
	v_mul_lo_u32 v4, v4, s9
	v_xor_b32_e32 v9, 0x7fffffff, v8
	v_sub_u32_e32 v10, 0, v8
	v_cmp_lt_u32_e32 vcc, v4, v8
	v_fma_f32 v7, v7, s10, 0
	v_cndmask_b32_e32 v8, v10, v9, vcc
	v_fma_f32 v5, v5, s10, 0
	v_mul_f32_e32 v7, v7, v7
	v_add_u32_e32 v4, v8, v4
	v_fmac_f32_e32 v7, v5, v5
	v_mul_hi_u32 v8, v4, s8
	v_mul_f32_e32 v9, 0x4f800000, v7
	v_lshrrev_b32_e32 v8, 15, v8
	v_cmp_gt_f32_e32 vcc, s11, v7
	v_cndmask_b32_e32 v7, v7, v9, vcc
	v_mul_u32_u24_e32 v9, 0xadc8, v8
	v_add_u32_e32 v5, -1, v4
	v_sqrt_f32_e32 v10, v7
	v_sub_u32_e32 v4, v4, v9
	v_mul_u32_u24_e32 v8, 0xd47, v8
	v_mul_lo_u32 v4, v4, s9
	v_xor_b32_e32 v9, 0x7fffffff, v8
	v_sub_u32_e32 v11, 0, v8
	v_cmp_lt_u32_e64 s[0:1], v4, v8
	v_cndmask_b32_e64 v8, v11, v9, s[0:1]
	v_add_u32_e32 v4, v8, v4
	v_add_u32_e32 v8, -1, v10
	v_add_u32_e32 v9, 1, v10
	v_add_u32_e32 v11, -1, v4
	v_fma_f32 v12, -v8, v10, v7
	v_fma_f32 v13, -v9, v10, v7
	v_cvt_f32_u32_e32 v11, v11
	v_cmp_ge_f32_e64 s[0:1], 0, v12
	v_cvt_f32_u32_e32 v5, v5
	v_cndmask_b32_e64 v8, v10, v8, s[0:1]
	v_cmp_lt_f32_e64 s[0:1], 0, v13
	v_cndmask_b32_e64 v8, v8, v9, s[0:1]
	v_mul_f32_e32 v9, 0x37800000, v8
	v_cndmask_b32_e32 v8, v8, v9, vcc
	v_fma_f32 v9, v11, s10, 0
	v_cmp_class_f32_e32 vcc, v7, v3
	v_fma_f32 v5, v5, s10, 0
	v_cndmask_b32_e32 v7, v8, v7, vcc
	v_mul_f32_e32 v8, v9, v9
	v_add_f32_e32 v6, 1.0, v1
	v_cmp_nge_f32_e32 vcc, 1.0, v7
	v_fmac_f32_e32 v8, v5, v5
	v_cndmask_b32_e32 v1, v6, v1, vcc
	v_mul_f32_e32 v5, 0x4f800000, v8
	v_cmp_gt_f32_e32 vcc, s11, v8
	v_cndmask_b32_e32 v5, v8, v5, vcc
	v_sqrt_f32_e32 v7, v5
	s_add_i32 s3, s3, -2
	v_add_f32_e32 v6, 1.0, v1
	s_cmp_lg_u32 s3, 0
	v_add_u32_e32 v8, -1, v7
	v_add_u32_e32 v9, 1, v7
	v_fma_f32 v10, -v8, v7, v5
	v_fma_f32 v11, -v9, v7, v5
	v_cmp_ge_f32_e64 s[0:1], 0, v10
	v_cndmask_b32_e64 v7, v7, v8, s[0:1]
	v_cmp_lt_f32_e64 s[0:1], 0, v11
	v_cndmask_b32_e64 v7, v7, v9, s[0:1]
	v_mul_f32_e32 v8, 0x37800000, v7
	v_cndmask_b32_e32 v7, v7, v8, vcc
	v_cmp_class_f32_e32 vcc, v5, v3
	v_cndmask_b32_e32 v5, v7, v5, vcc
	v_cmp_nge_f32_e32 vcc, 1.0, v5
	v_cndmask_b32_e32 v1, v6, v1, vcc
	s_cbranch_scc1 .LBB20_2
; %bb.3:
	v_lshl_add_u32 v3, v2, 12, v2
	v_add_u32_e32 v2, 0x7edd5d96, v3
	v_lshrrev_b32_e32 v4, 19, v2
	v_xor_b32_e32 v2, v2, v4
	v_xor_b32_e32 v2, 0xc761c23c, v2
	v_lshl_add_u32 v2, v2, 5, v2
	v_mov_b32_e32 v5, 0xaccf6200
	v_add_u32_e32 v4, 0xe9f8cc1d, v2
	v_lshl_add_u32 v2, v2, 9, v5
	v_xor_b32_e32 v2, v4, v2
	v_lshlrev_b32_e32 v4, 3, v2
	s_mov_b32 s0, 0xfd7046c5
	v_add3_u32 v2, v2, v4, s0
	v_xor_b32_sdwa v2, v2, v2 dst_sel:DWORD dst_unused:UNUSED_PAD src0_sel:DWORD src1_sel:WORD_1
	v_xor_b32_e32 v2, 0xb55a4f09, v2
	v_mul_hi_u32 v4, v2, 3
	v_sub_u32_e32 v5, v2, v4
	v_lshrrev_b32_e32 v5, 1, v5
	v_add_u32_e32 v4, v5, v4
	v_lshrrev_b32_e32 v4, 30, v4
	s_brev_b32 s0, -2
	v_mul_lo_u32 v4, v4, s0
	v_sub_u32_e32 v2, v2, v4
	v_max_u32_e32 v5, 1, v2
	s_movk_i32 s3, 0x2710
	v_mov_b32_e32 v2, 0
	s_mov_b32 s8, 0xbc8f1391
	s_mov_b32 s9, 0xbc8f
	s_brev_b32 s10, 12
	s_mov_b32 s11, 0xf800000
	v_mov_b32_e32 v4, 0x260
.LBB20_4:                               ; =>This Inner Loop Header: Depth=1
	v_mul_hi_u32 v6, v5, s8
	v_lshrrev_b32_e32 v6, 15, v6
	v_mul_u32_u24_e32 v8, 0xadc8, v6
	v_sub_u32_e32 v5, v5, v8
	v_mul_u32_u24_e32 v6, 0xd47, v6
	v_mul_lo_u32 v5, v5, s9
	v_xor_b32_e32 v8, 0x7fffffff, v6
	v_sub_u32_e32 v9, 0, v6
	v_cmp_lt_u32_e32 vcc, v5, v6
	v_cndmask_b32_e32 v6, v9, v8, vcc
	v_add_u32_e32 v5, v6, v5
	v_mul_hi_u32 v8, v5, s8
	v_lshrrev_b32_e32 v8, 15, v8
	v_mul_u32_u24_e32 v9, 0xadc8, v8
	v_add_u32_e32 v6, -1, v5
	v_sub_u32_e32 v5, v5, v9
	v_mul_u32_u24_e32 v8, 0xd47, v8
	v_mul_lo_u32 v5, v5, s9
	v_xor_b32_e32 v9, 0x7fffffff, v8
	v_sub_u32_e32 v10, 0, v8
	v_cmp_lt_u32_e32 vcc, v5, v8
	v_cndmask_b32_e32 v8, v10, v9, vcc
	v_add_u32_e32 v5, v8, v5
	v_mul_hi_u32 v9, v5, s8
	v_add_u32_e32 v8, -1, v5
	v_lshrrev_b32_e32 v9, 15, v9
	v_cvt_f32_u32_e32 v8, v8
	v_mul_u32_u24_e32 v10, 0xadc8, v9
	v_cvt_f32_u32_e32 v6, v6
	v_sub_u32_e32 v5, v5, v10
	v_mul_u32_u24_e32 v9, 0xd47, v9
	v_mul_lo_u32 v5, v5, s9
	v_xor_b32_e32 v10, 0x7fffffff, v9
	v_sub_u32_e32 v11, 0, v9
	v_cmp_lt_u32_e32 vcc, v5, v9
	v_fma_f32 v8, v8, s10, 0
	v_cndmask_b32_e32 v9, v11, v10, vcc
	v_fma_f32 v6, v6, s10, 0
	v_mul_f32_e32 v8, v8, v8
	v_add_u32_e32 v5, v9, v5
	v_fmac_f32_e32 v8, v6, v6
	v_mul_hi_u32 v9, v5, s8
	v_mul_f32_e32 v10, 0x4f800000, v8
	v_lshrrev_b32_e32 v9, 15, v9
	v_cmp_gt_f32_e32 vcc, s11, v8
	v_cndmask_b32_e32 v8, v8, v10, vcc
	v_mul_u32_u24_e32 v10, 0xadc8, v9
	v_add_u32_e32 v6, -1, v5
	v_sqrt_f32_e32 v11, v8
	v_sub_u32_e32 v5, v5, v10
	v_mul_u32_u24_e32 v9, 0xd47, v9
	v_mul_lo_u32 v5, v5, s9
	v_xor_b32_e32 v10, 0x7fffffff, v9
	v_sub_u32_e32 v12, 0, v9
	v_cmp_lt_u32_e64 s[0:1], v5, v9
	v_cndmask_b32_e64 v9, v12, v10, s[0:1]
	v_add_u32_e32 v5, v9, v5
	v_add_u32_e32 v9, -1, v11
	v_add_u32_e32 v10, 1, v11
	v_add_u32_e32 v12, -1, v5
	v_fma_f32 v13, -v9, v11, v8
	v_fma_f32 v14, -v10, v11, v8
	v_cvt_f32_u32_e32 v12, v12
	v_cmp_ge_f32_e64 s[0:1], 0, v13
	v_cvt_f32_u32_e32 v6, v6
	v_cndmask_b32_e64 v9, v11, v9, s[0:1]
	v_cmp_lt_f32_e64 s[0:1], 0, v14
	v_cndmask_b32_e64 v9, v9, v10, s[0:1]
	v_mul_f32_e32 v10, 0x37800000, v9
	v_cndmask_b32_e32 v9, v9, v10, vcc
	v_fma_f32 v10, v12, s10, 0
	v_cmp_class_f32_e32 vcc, v8, v4
	v_fma_f32 v6, v6, s10, 0
	v_cndmask_b32_e32 v8, v9, v8, vcc
	v_mul_f32_e32 v9, v10, v10
	v_add_f32_e32 v7, 1.0, v2
	v_cmp_nge_f32_e32 vcc, 1.0, v8
	v_fmac_f32_e32 v9, v6, v6
	v_cndmask_b32_e32 v2, v7, v2, vcc
	v_mul_f32_e32 v6, 0x4f800000, v9
	v_cmp_gt_f32_e32 vcc, s11, v9
	v_cndmask_b32_e32 v6, v9, v6, vcc
	v_sqrt_f32_e32 v8, v6
	s_add_i32 s3, s3, -2
	v_add_f32_e32 v7, 1.0, v2
	s_cmp_lg_u32 s3, 0
	v_add_u32_e32 v9, -1, v8
	v_add_u32_e32 v10, 1, v8
	v_fma_f32 v11, -v9, v8, v6
	v_fma_f32 v12, -v10, v8, v6
	v_cmp_ge_f32_e64 s[0:1], 0, v11
	v_cndmask_b32_e64 v8, v8, v9, s[0:1]
	v_cmp_lt_f32_e64 s[0:1], 0, v12
	v_cndmask_b32_e64 v8, v8, v10, s[0:1]
	v_mul_f32_e32 v9, 0x37800000, v8
	v_cndmask_b32_e32 v8, v8, v9, vcc
	v_cmp_class_f32_e32 vcc, v6, v4
	v_cndmask_b32_e32 v6, v8, v6, vcc
	v_cmp_nge_f32_e32 vcc, 1.0, v6
	v_cndmask_b32_e32 v2, v7, v2, vcc
	s_cbranch_scc1 .LBB20_4
; %bb.5:
	v_add_u32_e32 v4, 0x7ee55e16, v3
	v_lshrrev_b32_e32 v5, 19, v4
	v_xor_b32_e32 v4, v4, v5
	v_xor_b32_e32 v4, 0xc761c23c, v4
	v_lshl_add_u32 v4, v4, 5, v4
	v_mov_b32_e32 v6, 0xaccf6200
	v_add_u32_e32 v5, 0xe9f8cc1d, v4
	v_lshl_add_u32 v4, v4, 9, v6
	v_xor_b32_e32 v4, v5, v4
	v_lshlrev_b32_e32 v5, 3, v4
	s_mov_b32 s0, 0xfd7046c5
	v_add3_u32 v4, v4, v5, s0
	v_xor_b32_sdwa v4, v4, v4 dst_sel:DWORD dst_unused:UNUSED_PAD src0_sel:DWORD src1_sel:WORD_1
	v_xor_b32_e32 v4, 0xb55a4f09, v4
	v_mul_hi_u32 v5, v4, 3
	v_sub_u32_e32 v6, v4, v5
	v_lshrrev_b32_e32 v6, 1, v6
	v_add_u32_e32 v5, v6, v5
	v_lshrrev_b32_e32 v5, 30, v5
	s_brev_b32 s0, -2
	v_mul_lo_u32 v5, v5, s0
	v_sub_u32_e32 v4, v4, v5
	v_max_u32_e32 v6, 1, v4
	s_movk_i32 s3, 0x2710
	v_mov_b32_e32 v4, 0
	s_mov_b32 s8, 0xbc8f1391
	s_mov_b32 s9, 0xbc8f
	s_brev_b32 s10, 12
	s_mov_b32 s11, 0xf800000
	v_mov_b32_e32 v5, 0x260
.LBB20_6:                               ; =>This Inner Loop Header: Depth=1
	v_mul_hi_u32 v7, v6, s8
	v_lshrrev_b32_e32 v7, 15, v7
	v_mul_u32_u24_e32 v9, 0xadc8, v7
	v_sub_u32_e32 v6, v6, v9
	v_mul_u32_u24_e32 v7, 0xd47, v7
	v_mul_lo_u32 v6, v6, s9
	v_xor_b32_e32 v9, 0x7fffffff, v7
	v_sub_u32_e32 v10, 0, v7
	v_cmp_lt_u32_e32 vcc, v6, v7
	v_cndmask_b32_e32 v7, v10, v9, vcc
	v_add_u32_e32 v6, v7, v6
	v_mul_hi_u32 v9, v6, s8
	v_lshrrev_b32_e32 v9, 15, v9
	v_mul_u32_u24_e32 v10, 0xadc8, v9
	v_add_u32_e32 v7, -1, v6
	v_sub_u32_e32 v6, v6, v10
	v_mul_u32_u24_e32 v9, 0xd47, v9
	v_mul_lo_u32 v6, v6, s9
	v_xor_b32_e32 v10, 0x7fffffff, v9
	v_sub_u32_e32 v11, 0, v9
	v_cmp_lt_u32_e32 vcc, v6, v9
	v_cndmask_b32_e32 v9, v11, v10, vcc
	v_add_u32_e32 v6, v9, v6
	v_mul_hi_u32 v10, v6, s8
	v_add_u32_e32 v9, -1, v6
	v_lshrrev_b32_e32 v10, 15, v10
	v_cvt_f32_u32_e32 v9, v9
	v_mul_u32_u24_e32 v11, 0xadc8, v10
	v_cvt_f32_u32_e32 v7, v7
	v_sub_u32_e32 v6, v6, v11
	v_mul_u32_u24_e32 v10, 0xd47, v10
	v_mul_lo_u32 v6, v6, s9
	v_xor_b32_e32 v11, 0x7fffffff, v10
	v_sub_u32_e32 v12, 0, v10
	v_cmp_lt_u32_e32 vcc, v6, v10
	v_fma_f32 v9, v9, s10, 0
	v_cndmask_b32_e32 v10, v12, v11, vcc
	v_fma_f32 v7, v7, s10, 0
	v_mul_f32_e32 v9, v9, v9
	v_add_u32_e32 v6, v10, v6
	v_fmac_f32_e32 v9, v7, v7
	v_mul_hi_u32 v10, v6, s8
	v_mul_f32_e32 v11, 0x4f800000, v9
	v_lshrrev_b32_e32 v10, 15, v10
	v_cmp_gt_f32_e32 vcc, s11, v9
	v_cndmask_b32_e32 v9, v9, v11, vcc
	v_mul_u32_u24_e32 v11, 0xadc8, v10
	v_add_u32_e32 v7, -1, v6
	v_sqrt_f32_e32 v12, v9
	v_sub_u32_e32 v6, v6, v11
	v_mul_u32_u24_e32 v10, 0xd47, v10
	v_mul_lo_u32 v6, v6, s9
	v_xor_b32_e32 v11, 0x7fffffff, v10
	v_sub_u32_e32 v13, 0, v10
	v_cmp_lt_u32_e64 s[0:1], v6, v10
	v_cndmask_b32_e64 v10, v13, v11, s[0:1]
	v_add_u32_e32 v6, v10, v6
	v_add_u32_e32 v10, -1, v12
	v_add_u32_e32 v11, 1, v12
	v_add_u32_e32 v13, -1, v6
	v_fma_f32 v14, -v10, v12, v9
	v_fma_f32 v15, -v11, v12, v9
	v_cvt_f32_u32_e32 v13, v13
	v_cmp_ge_f32_e64 s[0:1], 0, v14
	v_cvt_f32_u32_e32 v7, v7
	v_cndmask_b32_e64 v10, v12, v10, s[0:1]
	v_cmp_lt_f32_e64 s[0:1], 0, v15
	v_cndmask_b32_e64 v10, v10, v11, s[0:1]
	v_mul_f32_e32 v11, 0x37800000, v10
	v_cndmask_b32_e32 v10, v10, v11, vcc
	v_fma_f32 v11, v13, s10, 0
	v_cmp_class_f32_e32 vcc, v9, v5
	v_fma_f32 v7, v7, s10, 0
	v_cndmask_b32_e32 v9, v10, v9, vcc
	v_mul_f32_e32 v10, v11, v11
	v_add_f32_e32 v8, 1.0, v4
	v_cmp_nge_f32_e32 vcc, 1.0, v9
	v_fmac_f32_e32 v10, v7, v7
	v_cndmask_b32_e32 v4, v8, v4, vcc
	v_mul_f32_e32 v7, 0x4f800000, v10
	v_cmp_gt_f32_e32 vcc, s11, v10
	v_cndmask_b32_e32 v7, v10, v7, vcc
	v_sqrt_f32_e32 v9, v7
	s_add_i32 s3, s3, -2
	v_add_f32_e32 v8, 1.0, v4
	s_cmp_lg_u32 s3, 0
	v_add_u32_e32 v10, -1, v9
	v_add_u32_e32 v11, 1, v9
	v_fma_f32 v12, -v10, v9, v7
	v_fma_f32 v13, -v11, v9, v7
	v_cmp_ge_f32_e64 s[0:1], 0, v12
	v_cndmask_b32_e64 v9, v9, v10, s[0:1]
	v_cmp_lt_f32_e64 s[0:1], 0, v13
	v_cndmask_b32_e64 v9, v9, v11, s[0:1]
	v_mul_f32_e32 v10, 0x37800000, v9
	v_cndmask_b32_e32 v9, v9, v10, vcc
	v_cmp_class_f32_e32 vcc, v7, v5
	v_cndmask_b32_e32 v7, v9, v7, vcc
	v_cmp_nge_f32_e32 vcc, 1.0, v7
	v_cndmask_b32_e32 v4, v8, v4, vcc
	s_cbranch_scc1 .LBB20_6
; %bb.7:
	v_add_u32_e32 v5, 0x7eed5e96, v3
	v_lshrrev_b32_e32 v6, 19, v5
	v_xor_b32_e32 v5, v5, v6
	v_xor_b32_e32 v5, 0xc761c23c, v5
	v_lshl_add_u32 v5, v5, 5, v5
	v_mov_b32_e32 v7, 0xaccf6200
	v_add_u32_e32 v6, 0xe9f8cc1d, v5
	v_lshl_add_u32 v5, v5, 9, v7
	v_xor_b32_e32 v5, v6, v5
	v_lshlrev_b32_e32 v6, 3, v5
	s_mov_b32 s0, 0xfd7046c5
	v_add3_u32 v5, v5, v6, s0
	v_xor_b32_sdwa v5, v5, v5 dst_sel:DWORD dst_unused:UNUSED_PAD src0_sel:DWORD src1_sel:WORD_1
	v_xor_b32_e32 v5, 0xb55a4f09, v5
	v_mul_hi_u32 v6, v5, 3
	v_sub_u32_e32 v7, v5, v6
	v_lshrrev_b32_e32 v7, 1, v7
	v_add_u32_e32 v6, v7, v6
	v_lshrrev_b32_e32 v6, 30, v6
	s_brev_b32 s0, -2
	v_mul_lo_u32 v6, v6, s0
	v_sub_u32_e32 v5, v5, v6
	v_max_u32_e32 v7, 1, v5
	s_movk_i32 s3, 0x2710
	v_mov_b32_e32 v5, 0
	s_mov_b32 s8, 0xbc8f1391
	s_mov_b32 s9, 0xbc8f
	s_brev_b32 s10, 12
	s_mov_b32 s11, 0xf800000
	v_mov_b32_e32 v6, 0x260
.LBB20_8:                               ; =>This Inner Loop Header: Depth=1
	v_mul_hi_u32 v8, v7, s8
	v_lshrrev_b32_e32 v8, 15, v8
	v_mul_u32_u24_e32 v10, 0xadc8, v8
	v_sub_u32_e32 v7, v7, v10
	v_mul_u32_u24_e32 v8, 0xd47, v8
	v_mul_lo_u32 v7, v7, s9
	v_xor_b32_e32 v10, 0x7fffffff, v8
	v_sub_u32_e32 v11, 0, v8
	v_cmp_lt_u32_e32 vcc, v7, v8
	v_cndmask_b32_e32 v8, v11, v10, vcc
	v_add_u32_e32 v7, v8, v7
	v_mul_hi_u32 v10, v7, s8
	v_lshrrev_b32_e32 v10, 15, v10
	v_mul_u32_u24_e32 v11, 0xadc8, v10
	v_add_u32_e32 v8, -1, v7
	v_sub_u32_e32 v7, v7, v11
	v_mul_u32_u24_e32 v10, 0xd47, v10
	v_mul_lo_u32 v7, v7, s9
	v_xor_b32_e32 v11, 0x7fffffff, v10
	v_sub_u32_e32 v12, 0, v10
	v_cmp_lt_u32_e32 vcc, v7, v10
	v_cndmask_b32_e32 v10, v12, v11, vcc
	v_add_u32_e32 v7, v10, v7
	v_mul_hi_u32 v11, v7, s8
	v_add_u32_e32 v10, -1, v7
	v_lshrrev_b32_e32 v11, 15, v11
	v_cvt_f32_u32_e32 v10, v10
	v_mul_u32_u24_e32 v12, 0xadc8, v11
	v_cvt_f32_u32_e32 v8, v8
	v_sub_u32_e32 v7, v7, v12
	v_mul_u32_u24_e32 v11, 0xd47, v11
	v_mul_lo_u32 v7, v7, s9
	v_xor_b32_e32 v12, 0x7fffffff, v11
	v_sub_u32_e32 v13, 0, v11
	v_cmp_lt_u32_e32 vcc, v7, v11
	v_fma_f32 v10, v10, s10, 0
	v_cndmask_b32_e32 v11, v13, v12, vcc
	v_fma_f32 v8, v8, s10, 0
	v_mul_f32_e32 v10, v10, v10
	v_add_u32_e32 v7, v11, v7
	v_fmac_f32_e32 v10, v8, v8
	v_mul_hi_u32 v11, v7, s8
	v_mul_f32_e32 v12, 0x4f800000, v10
	v_lshrrev_b32_e32 v11, 15, v11
	v_cmp_gt_f32_e32 vcc, s11, v10
	v_cndmask_b32_e32 v10, v10, v12, vcc
	v_mul_u32_u24_e32 v12, 0xadc8, v11
	v_add_u32_e32 v8, -1, v7
	v_sqrt_f32_e32 v13, v10
	v_sub_u32_e32 v7, v7, v12
	v_mul_u32_u24_e32 v11, 0xd47, v11
	v_mul_lo_u32 v7, v7, s9
	v_xor_b32_e32 v12, 0x7fffffff, v11
	v_sub_u32_e32 v14, 0, v11
	v_cmp_lt_u32_e64 s[0:1], v7, v11
	v_cndmask_b32_e64 v11, v14, v12, s[0:1]
	v_add_u32_e32 v7, v11, v7
	v_add_u32_e32 v11, -1, v13
	v_add_u32_e32 v12, 1, v13
	v_add_u32_e32 v14, -1, v7
	v_fma_f32 v15, -v11, v13, v10
	v_fma_f32 v16, -v12, v13, v10
	v_cvt_f32_u32_e32 v14, v14
	v_cmp_ge_f32_e64 s[0:1], 0, v15
	v_cvt_f32_u32_e32 v8, v8
	v_cndmask_b32_e64 v11, v13, v11, s[0:1]
	v_cmp_lt_f32_e64 s[0:1], 0, v16
	v_cndmask_b32_e64 v11, v11, v12, s[0:1]
	v_mul_f32_e32 v12, 0x37800000, v11
	v_cndmask_b32_e32 v11, v11, v12, vcc
	v_fma_f32 v12, v14, s10, 0
	v_cmp_class_f32_e32 vcc, v10, v6
	v_fma_f32 v8, v8, s10, 0
	v_cndmask_b32_e32 v10, v11, v10, vcc
	v_mul_f32_e32 v11, v12, v12
	v_add_f32_e32 v9, 1.0, v5
	v_cmp_nge_f32_e32 vcc, 1.0, v10
	v_fmac_f32_e32 v11, v8, v8
	v_cndmask_b32_e32 v5, v9, v5, vcc
	v_mul_f32_e32 v8, 0x4f800000, v11
	v_cmp_gt_f32_e32 vcc, s11, v11
	v_cndmask_b32_e32 v8, v11, v8, vcc
	v_sqrt_f32_e32 v10, v8
	s_add_i32 s3, s3, -2
	v_add_f32_e32 v9, 1.0, v5
	s_cmp_lg_u32 s3, 0
	v_add_u32_e32 v11, -1, v10
	v_add_u32_e32 v12, 1, v10
	v_fma_f32 v13, -v11, v10, v8
	v_fma_f32 v14, -v12, v10, v8
	v_cmp_ge_f32_e64 s[0:1], 0, v13
	v_cndmask_b32_e64 v10, v10, v11, s[0:1]
	v_cmp_lt_f32_e64 s[0:1], 0, v14
	v_cndmask_b32_e64 v10, v10, v12, s[0:1]
	v_mul_f32_e32 v11, 0x37800000, v10
	v_cndmask_b32_e32 v10, v10, v11, vcc
	v_cmp_class_f32_e32 vcc, v8, v6
	v_cndmask_b32_e32 v8, v10, v8, vcc
	v_cmp_nge_f32_e32 vcc, 1.0, v8
	v_cndmask_b32_e32 v5, v9, v5, vcc
	s_cbranch_scc1 .LBB20_8
; %bb.9:
	v_add_u32_e32 v6, 0x7ef55f16, v3
	v_lshrrev_b32_e32 v7, 19, v6
	v_xor_b32_e32 v6, v6, v7
	v_xor_b32_e32 v6, 0xc761c23c, v6
	v_lshl_add_u32 v6, v6, 5, v6
	v_mov_b32_e32 v8, 0xaccf6200
	v_add_u32_e32 v7, 0xe9f8cc1d, v6
	v_lshl_add_u32 v6, v6, 9, v8
	v_xor_b32_e32 v6, v7, v6
	v_lshlrev_b32_e32 v7, 3, v6
	s_mov_b32 s0, 0xfd7046c5
	v_add3_u32 v6, v6, v7, s0
	v_xor_b32_sdwa v6, v6, v6 dst_sel:DWORD dst_unused:UNUSED_PAD src0_sel:DWORD src1_sel:WORD_1
	v_xor_b32_e32 v6, 0xb55a4f09, v6
	v_mul_hi_u32 v7, v6, 3
	v_sub_u32_e32 v8, v6, v7
	v_lshrrev_b32_e32 v8, 1, v8
	v_add_u32_e32 v7, v8, v7
	v_lshrrev_b32_e32 v7, 30, v7
	s_brev_b32 s0, -2
	v_mul_lo_u32 v7, v7, s0
	v_sub_u32_e32 v6, v6, v7
	v_max_u32_e32 v8, 1, v6
	s_movk_i32 s3, 0x2710
	v_mov_b32_e32 v6, 0
	s_mov_b32 s8, 0xbc8f1391
	s_mov_b32 s9, 0xbc8f
	s_brev_b32 s10, 12
	s_mov_b32 s11, 0xf800000
	v_mov_b32_e32 v7, 0x260
.LBB20_10:                              ; =>This Inner Loop Header: Depth=1
	v_mul_hi_u32 v9, v8, s8
	v_lshrrev_b32_e32 v9, 15, v9
	v_mul_u32_u24_e32 v11, 0xadc8, v9
	v_sub_u32_e32 v8, v8, v11
	v_mul_u32_u24_e32 v9, 0xd47, v9
	v_mul_lo_u32 v8, v8, s9
	v_xor_b32_e32 v11, 0x7fffffff, v9
	v_sub_u32_e32 v12, 0, v9
	v_cmp_lt_u32_e32 vcc, v8, v9
	v_cndmask_b32_e32 v9, v12, v11, vcc
	v_add_u32_e32 v8, v9, v8
	v_mul_hi_u32 v11, v8, s8
	v_lshrrev_b32_e32 v11, 15, v11
	v_mul_u32_u24_e32 v12, 0xadc8, v11
	v_add_u32_e32 v9, -1, v8
	v_sub_u32_e32 v8, v8, v12
	v_mul_u32_u24_e32 v11, 0xd47, v11
	v_mul_lo_u32 v8, v8, s9
	v_xor_b32_e32 v12, 0x7fffffff, v11
	v_sub_u32_e32 v13, 0, v11
	v_cmp_lt_u32_e32 vcc, v8, v11
	v_cndmask_b32_e32 v11, v13, v12, vcc
	v_add_u32_e32 v8, v11, v8
	v_mul_hi_u32 v12, v8, s8
	v_add_u32_e32 v11, -1, v8
	v_lshrrev_b32_e32 v12, 15, v12
	v_cvt_f32_u32_e32 v11, v11
	v_mul_u32_u24_e32 v13, 0xadc8, v12
	v_cvt_f32_u32_e32 v9, v9
	v_sub_u32_e32 v8, v8, v13
	v_mul_u32_u24_e32 v12, 0xd47, v12
	v_mul_lo_u32 v8, v8, s9
	v_xor_b32_e32 v13, 0x7fffffff, v12
	v_sub_u32_e32 v14, 0, v12
	v_cmp_lt_u32_e32 vcc, v8, v12
	v_fma_f32 v11, v11, s10, 0
	v_cndmask_b32_e32 v12, v14, v13, vcc
	v_fma_f32 v9, v9, s10, 0
	v_mul_f32_e32 v11, v11, v11
	v_add_u32_e32 v8, v12, v8
	v_fmac_f32_e32 v11, v9, v9
	v_mul_hi_u32 v12, v8, s8
	v_mul_f32_e32 v13, 0x4f800000, v11
	v_lshrrev_b32_e32 v12, 15, v12
	v_cmp_gt_f32_e32 vcc, s11, v11
	v_cndmask_b32_e32 v11, v11, v13, vcc
	v_mul_u32_u24_e32 v13, 0xadc8, v12
	v_add_u32_e32 v9, -1, v8
	v_sqrt_f32_e32 v14, v11
	v_sub_u32_e32 v8, v8, v13
	v_mul_u32_u24_e32 v12, 0xd47, v12
	v_mul_lo_u32 v8, v8, s9
	v_xor_b32_e32 v13, 0x7fffffff, v12
	v_sub_u32_e32 v15, 0, v12
	v_cmp_lt_u32_e64 s[0:1], v8, v12
	v_cndmask_b32_e64 v12, v15, v13, s[0:1]
	v_add_u32_e32 v8, v12, v8
	v_add_u32_e32 v12, -1, v14
	v_add_u32_e32 v13, 1, v14
	v_add_u32_e32 v15, -1, v8
	v_fma_f32 v16, -v12, v14, v11
	v_fma_f32 v17, -v13, v14, v11
	v_cvt_f32_u32_e32 v15, v15
	v_cmp_ge_f32_e64 s[0:1], 0, v16
	v_cvt_f32_u32_e32 v9, v9
	v_cndmask_b32_e64 v12, v14, v12, s[0:1]
	v_cmp_lt_f32_e64 s[0:1], 0, v17
	v_cndmask_b32_e64 v12, v12, v13, s[0:1]
	v_mul_f32_e32 v13, 0x37800000, v12
	v_cndmask_b32_e32 v12, v12, v13, vcc
	v_fma_f32 v13, v15, s10, 0
	v_cmp_class_f32_e32 vcc, v11, v7
	v_fma_f32 v9, v9, s10, 0
	v_cndmask_b32_e32 v11, v12, v11, vcc
	v_mul_f32_e32 v12, v13, v13
	v_add_f32_e32 v10, 1.0, v6
	v_cmp_nge_f32_e32 vcc, 1.0, v11
	v_fmac_f32_e32 v12, v9, v9
	v_cndmask_b32_e32 v6, v10, v6, vcc
	v_mul_f32_e32 v9, 0x4f800000, v12
	v_cmp_gt_f32_e32 vcc, s11, v12
	v_cndmask_b32_e32 v9, v12, v9, vcc
	v_sqrt_f32_e32 v11, v9
	s_add_i32 s3, s3, -2
	v_add_f32_e32 v10, 1.0, v6
	s_cmp_lg_u32 s3, 0
	v_add_u32_e32 v12, -1, v11
	v_add_u32_e32 v13, 1, v11
	v_fma_f32 v14, -v12, v11, v9
	v_fma_f32 v15, -v13, v11, v9
	v_cmp_ge_f32_e64 s[0:1], 0, v14
	v_cndmask_b32_e64 v11, v11, v12, s[0:1]
	v_cmp_lt_f32_e64 s[0:1], 0, v15
	v_cndmask_b32_e64 v11, v11, v13, s[0:1]
	v_mul_f32_e32 v12, 0x37800000, v11
	v_cndmask_b32_e32 v11, v11, v12, vcc
	v_cmp_class_f32_e32 vcc, v9, v7
	v_cndmask_b32_e32 v9, v11, v9, vcc
	v_cmp_nge_f32_e32 vcc, 1.0, v9
	v_cndmask_b32_e32 v6, v10, v6, vcc
	s_cbranch_scc1 .LBB20_10
; %bb.11:
	v_add_u32_e32 v7, 0x7efd5f96, v3
	v_lshrrev_b32_e32 v8, 19, v7
	v_xor_b32_e32 v7, v7, v8
	v_xor_b32_e32 v7, 0xc761c23c, v7
	v_lshl_add_u32 v7, v7, 5, v7
	v_mov_b32_e32 v9, 0xaccf6200
	v_add_u32_e32 v8, 0xe9f8cc1d, v7
	v_lshl_add_u32 v7, v7, 9, v9
	v_xor_b32_e32 v7, v8, v7
	v_lshlrev_b32_e32 v8, 3, v7
	s_mov_b32 s0, 0xfd7046c5
	v_add3_u32 v7, v7, v8, s0
	v_xor_b32_sdwa v7, v7, v7 dst_sel:DWORD dst_unused:UNUSED_PAD src0_sel:DWORD src1_sel:WORD_1
	v_xor_b32_e32 v7, 0xb55a4f09, v7
	v_mul_hi_u32 v8, v7, 3
	v_sub_u32_e32 v9, v7, v8
	v_lshrrev_b32_e32 v9, 1, v9
	v_add_u32_e32 v8, v9, v8
	v_lshrrev_b32_e32 v8, 30, v8
	s_brev_b32 s0, -2
	v_mul_lo_u32 v8, v8, s0
	v_sub_u32_e32 v7, v7, v8
	v_max_u32_e32 v9, 1, v7
	s_movk_i32 s3, 0x2710
	v_mov_b32_e32 v7, 0
	s_mov_b32 s8, 0xbc8f1391
	s_mov_b32 s9, 0xbc8f
	s_brev_b32 s10, 12
	s_mov_b32 s11, 0xf800000
	v_mov_b32_e32 v8, 0x260
.LBB20_12:                              ; =>This Inner Loop Header: Depth=1
	v_mul_hi_u32 v10, v9, s8
	v_lshrrev_b32_e32 v10, 15, v10
	v_mul_u32_u24_e32 v12, 0xadc8, v10
	v_sub_u32_e32 v9, v9, v12
	v_mul_u32_u24_e32 v10, 0xd47, v10
	v_mul_lo_u32 v9, v9, s9
	v_xor_b32_e32 v12, 0x7fffffff, v10
	v_sub_u32_e32 v13, 0, v10
	v_cmp_lt_u32_e32 vcc, v9, v10
	v_cndmask_b32_e32 v10, v13, v12, vcc
	v_add_u32_e32 v9, v10, v9
	v_mul_hi_u32 v12, v9, s8
	v_lshrrev_b32_e32 v12, 15, v12
	v_mul_u32_u24_e32 v13, 0xadc8, v12
	v_add_u32_e32 v10, -1, v9
	v_sub_u32_e32 v9, v9, v13
	v_mul_u32_u24_e32 v12, 0xd47, v12
	v_mul_lo_u32 v9, v9, s9
	v_xor_b32_e32 v13, 0x7fffffff, v12
	v_sub_u32_e32 v14, 0, v12
	v_cmp_lt_u32_e32 vcc, v9, v12
	v_cndmask_b32_e32 v12, v14, v13, vcc
	v_add_u32_e32 v9, v12, v9
	v_mul_hi_u32 v13, v9, s8
	v_add_u32_e32 v12, -1, v9
	v_lshrrev_b32_e32 v13, 15, v13
	v_cvt_f32_u32_e32 v12, v12
	v_mul_u32_u24_e32 v14, 0xadc8, v13
	v_cvt_f32_u32_e32 v10, v10
	v_sub_u32_e32 v9, v9, v14
	v_mul_u32_u24_e32 v13, 0xd47, v13
	v_mul_lo_u32 v9, v9, s9
	v_xor_b32_e32 v14, 0x7fffffff, v13
	v_sub_u32_e32 v15, 0, v13
	v_cmp_lt_u32_e32 vcc, v9, v13
	v_fma_f32 v12, v12, s10, 0
	v_cndmask_b32_e32 v13, v15, v14, vcc
	v_fma_f32 v10, v10, s10, 0
	v_mul_f32_e32 v12, v12, v12
	v_add_u32_e32 v9, v13, v9
	v_fmac_f32_e32 v12, v10, v10
	v_mul_hi_u32 v13, v9, s8
	v_mul_f32_e32 v14, 0x4f800000, v12
	v_lshrrev_b32_e32 v13, 15, v13
	v_cmp_gt_f32_e32 vcc, s11, v12
	v_cndmask_b32_e32 v12, v12, v14, vcc
	v_mul_u32_u24_e32 v14, 0xadc8, v13
	v_add_u32_e32 v10, -1, v9
	v_sqrt_f32_e32 v15, v12
	v_sub_u32_e32 v9, v9, v14
	v_mul_u32_u24_e32 v13, 0xd47, v13
	v_mul_lo_u32 v9, v9, s9
	v_xor_b32_e32 v14, 0x7fffffff, v13
	v_sub_u32_e32 v16, 0, v13
	v_cmp_lt_u32_e64 s[0:1], v9, v13
	v_cndmask_b32_e64 v13, v16, v14, s[0:1]
	v_add_u32_e32 v9, v13, v9
	v_add_u32_e32 v13, -1, v15
	v_add_u32_e32 v14, 1, v15
	v_add_u32_e32 v16, -1, v9
	v_fma_f32 v17, -v13, v15, v12
	v_fma_f32 v18, -v14, v15, v12
	v_cvt_f32_u32_e32 v16, v16
	v_cmp_ge_f32_e64 s[0:1], 0, v17
	v_cvt_f32_u32_e32 v10, v10
	v_cndmask_b32_e64 v13, v15, v13, s[0:1]
	v_cmp_lt_f32_e64 s[0:1], 0, v18
	v_cndmask_b32_e64 v13, v13, v14, s[0:1]
	v_mul_f32_e32 v14, 0x37800000, v13
	v_cndmask_b32_e32 v13, v13, v14, vcc
	v_fma_f32 v14, v16, s10, 0
	v_cmp_class_f32_e32 vcc, v12, v8
	v_fma_f32 v10, v10, s10, 0
	v_cndmask_b32_e32 v12, v13, v12, vcc
	v_mul_f32_e32 v13, v14, v14
	v_add_f32_e32 v11, 1.0, v7
	v_cmp_nge_f32_e32 vcc, 1.0, v12
	v_fmac_f32_e32 v13, v10, v10
	v_cndmask_b32_e32 v7, v11, v7, vcc
	v_mul_f32_e32 v10, 0x4f800000, v13
	v_cmp_gt_f32_e32 vcc, s11, v13
	v_cndmask_b32_e32 v10, v13, v10, vcc
	v_sqrt_f32_e32 v12, v10
	s_add_i32 s3, s3, -2
	v_add_f32_e32 v11, 1.0, v7
	s_cmp_lg_u32 s3, 0
	v_add_u32_e32 v13, -1, v12
	v_add_u32_e32 v14, 1, v12
	v_fma_f32 v15, -v13, v12, v10
	v_fma_f32 v16, -v14, v12, v10
	v_cmp_ge_f32_e64 s[0:1], 0, v15
	v_cndmask_b32_e64 v12, v12, v13, s[0:1]
	v_cmp_lt_f32_e64 s[0:1], 0, v16
	v_cndmask_b32_e64 v12, v12, v14, s[0:1]
	v_mul_f32_e32 v13, 0x37800000, v12
	v_cndmask_b32_e32 v12, v12, v13, vcc
	v_cmp_class_f32_e32 vcc, v10, v8
	v_cndmask_b32_e32 v10, v12, v10, vcc
	v_cmp_nge_f32_e32 vcc, 1.0, v10
	v_cndmask_b32_e32 v7, v11, v7, vcc
	s_cbranch_scc1 .LBB20_12
; %bb.13:
	v_add_u32_e32 v8, 0x7f056016, v3
	v_lshrrev_b32_e32 v9, 19, v8
	v_xor_b32_e32 v8, v8, v9
	v_xor_b32_e32 v8, 0xc761c23c, v8
	v_lshl_add_u32 v8, v8, 5, v8
	v_mov_b32_e32 v10, 0xaccf6200
	v_add_u32_e32 v9, 0xe9f8cc1d, v8
	v_lshl_add_u32 v8, v8, 9, v10
	v_xor_b32_e32 v8, v9, v8
	v_lshlrev_b32_e32 v9, 3, v8
	s_mov_b32 s0, 0xfd7046c5
	v_add3_u32 v8, v8, v9, s0
	v_xor_b32_sdwa v8, v8, v8 dst_sel:DWORD dst_unused:UNUSED_PAD src0_sel:DWORD src1_sel:WORD_1
	v_xor_b32_e32 v8, 0xb55a4f09, v8
	v_mul_hi_u32 v9, v8, 3
	v_sub_u32_e32 v10, v8, v9
	v_lshrrev_b32_e32 v10, 1, v10
	v_add_u32_e32 v9, v10, v9
	v_lshrrev_b32_e32 v9, 30, v9
	s_brev_b32 s0, -2
	v_mul_lo_u32 v9, v9, s0
	v_sub_u32_e32 v8, v8, v9
	v_max_u32_e32 v10, 1, v8
	s_movk_i32 s3, 0x2710
	v_mov_b32_e32 v8, 0
	s_mov_b32 s8, 0xbc8f1391
	s_mov_b32 s9, 0xbc8f
	s_brev_b32 s10, 12
	s_mov_b32 s11, 0xf800000
	v_mov_b32_e32 v9, 0x260
.LBB20_14:                              ; =>This Inner Loop Header: Depth=1
	v_mul_hi_u32 v11, v10, s8
	v_lshrrev_b32_e32 v11, 15, v11
	v_mul_u32_u24_e32 v13, 0xadc8, v11
	v_sub_u32_e32 v10, v10, v13
	v_mul_u32_u24_e32 v11, 0xd47, v11
	v_mul_lo_u32 v10, v10, s9
	v_xor_b32_e32 v13, 0x7fffffff, v11
	v_sub_u32_e32 v14, 0, v11
	v_cmp_lt_u32_e32 vcc, v10, v11
	v_cndmask_b32_e32 v11, v14, v13, vcc
	v_add_u32_e32 v10, v11, v10
	v_mul_hi_u32 v13, v10, s8
	v_lshrrev_b32_e32 v13, 15, v13
	v_mul_u32_u24_e32 v14, 0xadc8, v13
	v_add_u32_e32 v11, -1, v10
	v_sub_u32_e32 v10, v10, v14
	v_mul_u32_u24_e32 v13, 0xd47, v13
	v_mul_lo_u32 v10, v10, s9
	v_xor_b32_e32 v14, 0x7fffffff, v13
	v_sub_u32_e32 v15, 0, v13
	v_cmp_lt_u32_e32 vcc, v10, v13
	v_cndmask_b32_e32 v13, v15, v14, vcc
	v_add_u32_e32 v10, v13, v10
	v_mul_hi_u32 v14, v10, s8
	v_add_u32_e32 v13, -1, v10
	v_lshrrev_b32_e32 v14, 15, v14
	v_cvt_f32_u32_e32 v13, v13
	v_mul_u32_u24_e32 v15, 0xadc8, v14
	v_cvt_f32_u32_e32 v11, v11
	v_sub_u32_e32 v10, v10, v15
	v_mul_u32_u24_e32 v14, 0xd47, v14
	v_mul_lo_u32 v10, v10, s9
	v_xor_b32_e32 v15, 0x7fffffff, v14
	v_sub_u32_e32 v16, 0, v14
	v_cmp_lt_u32_e32 vcc, v10, v14
	v_fma_f32 v13, v13, s10, 0
	v_cndmask_b32_e32 v14, v16, v15, vcc
	v_fma_f32 v11, v11, s10, 0
	v_mul_f32_e32 v13, v13, v13
	v_add_u32_e32 v10, v14, v10
	v_fmac_f32_e32 v13, v11, v11
	v_mul_hi_u32 v14, v10, s8
	v_mul_f32_e32 v15, 0x4f800000, v13
	v_lshrrev_b32_e32 v14, 15, v14
	v_cmp_gt_f32_e32 vcc, s11, v13
	v_cndmask_b32_e32 v13, v13, v15, vcc
	v_mul_u32_u24_e32 v15, 0xadc8, v14
	v_add_u32_e32 v11, -1, v10
	v_sqrt_f32_e32 v16, v13
	v_sub_u32_e32 v10, v10, v15
	v_mul_u32_u24_e32 v14, 0xd47, v14
	v_mul_lo_u32 v10, v10, s9
	v_xor_b32_e32 v15, 0x7fffffff, v14
	v_sub_u32_e32 v17, 0, v14
	v_cmp_lt_u32_e64 s[0:1], v10, v14
	v_cndmask_b32_e64 v14, v17, v15, s[0:1]
	v_add_u32_e32 v10, v14, v10
	v_add_u32_e32 v14, -1, v16
	v_add_u32_e32 v15, 1, v16
	v_add_u32_e32 v17, -1, v10
	v_fma_f32 v18, -v14, v16, v13
	v_fma_f32 v19, -v15, v16, v13
	v_cvt_f32_u32_e32 v17, v17
	v_cmp_ge_f32_e64 s[0:1], 0, v18
	v_cvt_f32_u32_e32 v11, v11
	v_cndmask_b32_e64 v14, v16, v14, s[0:1]
	v_cmp_lt_f32_e64 s[0:1], 0, v19
	v_cndmask_b32_e64 v14, v14, v15, s[0:1]
	v_mul_f32_e32 v15, 0x37800000, v14
	v_cndmask_b32_e32 v14, v14, v15, vcc
	v_fma_f32 v15, v17, s10, 0
	v_cmp_class_f32_e32 vcc, v13, v9
	v_fma_f32 v11, v11, s10, 0
	v_cndmask_b32_e32 v13, v14, v13, vcc
	v_mul_f32_e32 v14, v15, v15
	v_add_f32_e32 v12, 1.0, v8
	v_cmp_nge_f32_e32 vcc, 1.0, v13
	v_fmac_f32_e32 v14, v11, v11
	v_cndmask_b32_e32 v8, v12, v8, vcc
	v_mul_f32_e32 v11, 0x4f800000, v14
	v_cmp_gt_f32_e32 vcc, s11, v14
	v_cndmask_b32_e32 v11, v14, v11, vcc
	v_sqrt_f32_e32 v13, v11
	s_add_i32 s3, s3, -2
	v_add_f32_e32 v12, 1.0, v8
	s_cmp_lg_u32 s3, 0
	v_add_u32_e32 v14, -1, v13
	v_add_u32_e32 v15, 1, v13
	v_fma_f32 v16, -v14, v13, v11
	v_fma_f32 v17, -v15, v13, v11
	v_cmp_ge_f32_e64 s[0:1], 0, v16
	v_cndmask_b32_e64 v13, v13, v14, s[0:1]
	v_cmp_lt_f32_e64 s[0:1], 0, v17
	v_cndmask_b32_e64 v13, v13, v15, s[0:1]
	v_mul_f32_e32 v14, 0x37800000, v13
	v_cndmask_b32_e32 v13, v13, v14, vcc
	v_cmp_class_f32_e32 vcc, v11, v9
	v_cndmask_b32_e32 v11, v13, v11, vcc
	v_cmp_nge_f32_e32 vcc, 1.0, v11
	v_cndmask_b32_e32 v8, v12, v8, vcc
	s_cbranch_scc1 .LBB20_14
; %bb.15:
	v_add_u32_e32 v3, 0x7f0d6096, v3
	v_lshrrev_b32_e32 v9, 19, v3
	v_xor_b32_e32 v3, v3, v9
	v_xor_b32_e32 v3, 0xc761c23c, v3
	v_lshl_add_u32 v3, v3, 5, v3
	v_mov_b32_e32 v10, 0xaccf6200
	v_add_u32_e32 v9, 0xe9f8cc1d, v3
	v_lshl_add_u32 v3, v3, 9, v10
	v_xor_b32_e32 v3, v9, v3
	v_lshlrev_b32_e32 v9, 3, v3
	s_mov_b32 s0, 0xfd7046c5
	v_add3_u32 v3, v3, v9, s0
	v_xor_b32_sdwa v3, v3, v3 dst_sel:DWORD dst_unused:UNUSED_PAD src0_sel:DWORD src1_sel:WORD_1
	v_xor_b32_e32 v3, 0xb55a4f09, v3
	v_mul_hi_u32 v9, v3, 3
	v_sub_u32_e32 v10, v3, v9
	v_lshrrev_b32_e32 v10, 1, v10
	v_add_u32_e32 v9, v10, v9
	v_lshrrev_b32_e32 v9, 30, v9
	s_brev_b32 s0, -2
	v_mul_lo_u32 v9, v9, s0
	v_sub_u32_e32 v3, v3, v9
	v_max_u32_e32 v10, 1, v3
	s_movk_i32 s3, 0x2710
	v_mov_b32_e32 v3, 0
	s_mov_b32 s8, 0xbc8f1391
	s_mov_b32 s9, 0xbc8f
	s_brev_b32 s10, 12
	s_mov_b32 s11, 0xf800000
	v_mov_b32_e32 v9, 0x260
.LBB20_16:                              ; =>This Inner Loop Header: Depth=1
	v_mul_hi_u32 v11, v10, s8
	v_lshrrev_b32_e32 v11, 15, v11
	v_mul_u32_u24_e32 v13, 0xadc8, v11
	v_sub_u32_e32 v10, v10, v13
	v_mul_u32_u24_e32 v11, 0xd47, v11
	v_mul_lo_u32 v10, v10, s9
	v_xor_b32_e32 v13, 0x7fffffff, v11
	v_sub_u32_e32 v14, 0, v11
	v_cmp_lt_u32_e32 vcc, v10, v11
	v_cndmask_b32_e32 v11, v14, v13, vcc
	v_add_u32_e32 v10, v11, v10
	v_mul_hi_u32 v13, v10, s8
	v_lshrrev_b32_e32 v13, 15, v13
	v_mul_u32_u24_e32 v14, 0xadc8, v13
	v_add_u32_e32 v11, -1, v10
	v_sub_u32_e32 v10, v10, v14
	v_mul_u32_u24_e32 v13, 0xd47, v13
	v_mul_lo_u32 v10, v10, s9
	v_xor_b32_e32 v14, 0x7fffffff, v13
	v_sub_u32_e32 v15, 0, v13
	v_cmp_lt_u32_e32 vcc, v10, v13
	v_cndmask_b32_e32 v13, v15, v14, vcc
	v_add_u32_e32 v10, v13, v10
	v_mul_hi_u32 v14, v10, s8
	v_add_u32_e32 v13, -1, v10
	v_lshrrev_b32_e32 v14, 15, v14
	v_cvt_f32_u32_e32 v13, v13
	v_mul_u32_u24_e32 v15, 0xadc8, v14
	v_cvt_f32_u32_e32 v11, v11
	v_sub_u32_e32 v10, v10, v15
	v_mul_u32_u24_e32 v14, 0xd47, v14
	v_mul_lo_u32 v10, v10, s9
	v_xor_b32_e32 v15, 0x7fffffff, v14
	v_sub_u32_e32 v16, 0, v14
	v_cmp_lt_u32_e32 vcc, v10, v14
	v_fma_f32 v13, v13, s10, 0
	v_cndmask_b32_e32 v14, v16, v15, vcc
	v_fma_f32 v11, v11, s10, 0
	v_mul_f32_e32 v13, v13, v13
	v_add_u32_e32 v10, v14, v10
	v_fmac_f32_e32 v13, v11, v11
	v_mul_hi_u32 v14, v10, s8
	v_mul_f32_e32 v15, 0x4f800000, v13
	v_lshrrev_b32_e32 v14, 15, v14
	v_cmp_gt_f32_e32 vcc, s11, v13
	v_cndmask_b32_e32 v13, v13, v15, vcc
	v_mul_u32_u24_e32 v15, 0xadc8, v14
	v_add_u32_e32 v11, -1, v10
	v_sqrt_f32_e32 v16, v13
	v_sub_u32_e32 v10, v10, v15
	v_mul_u32_u24_e32 v14, 0xd47, v14
	v_mul_lo_u32 v10, v10, s9
	v_xor_b32_e32 v15, 0x7fffffff, v14
	v_sub_u32_e32 v17, 0, v14
	v_cmp_lt_u32_e64 s[0:1], v10, v14
	v_cndmask_b32_e64 v14, v17, v15, s[0:1]
	v_add_u32_e32 v10, v14, v10
	v_add_u32_e32 v14, -1, v16
	v_add_u32_e32 v15, 1, v16
	v_add_u32_e32 v17, -1, v10
	v_fma_f32 v18, -v14, v16, v13
	v_fma_f32 v19, -v15, v16, v13
	v_cvt_f32_u32_e32 v17, v17
	v_cmp_ge_f32_e64 s[0:1], 0, v18
	v_cvt_f32_u32_e32 v11, v11
	v_cndmask_b32_e64 v14, v16, v14, s[0:1]
	v_cmp_lt_f32_e64 s[0:1], 0, v19
	v_cndmask_b32_e64 v14, v14, v15, s[0:1]
	v_mul_f32_e32 v15, 0x37800000, v14
	v_cndmask_b32_e32 v14, v14, v15, vcc
	v_fma_f32 v15, v17, s10, 0
	v_cmp_class_f32_e32 vcc, v13, v9
	v_fma_f32 v11, v11, s10, 0
	v_cndmask_b32_e32 v13, v14, v13, vcc
	v_mul_f32_e32 v14, v15, v15
	v_add_f32_e32 v12, 1.0, v3
	v_cmp_nge_f32_e32 vcc, 1.0, v13
	v_fmac_f32_e32 v14, v11, v11
	v_cndmask_b32_e32 v3, v12, v3, vcc
	v_mul_f32_e32 v11, 0x4f800000, v14
	v_cmp_gt_f32_e32 vcc, s11, v14
	v_cndmask_b32_e32 v11, v14, v11, vcc
	v_sqrt_f32_e32 v13, v11
	s_add_i32 s3, s3, -2
	v_add_f32_e32 v12, 1.0, v3
	s_cmp_lg_u32 s3, 0
	v_add_u32_e32 v14, -1, v13
	v_add_u32_e32 v15, 1, v13
	v_fma_f32 v16, -v14, v13, v11
	v_fma_f32 v17, -v15, v13, v11
	v_cmp_ge_f32_e64 s[0:1], 0, v16
	v_cndmask_b32_e64 v13, v13, v14, s[0:1]
	v_cmp_lt_f32_e64 s[0:1], 0, v17
	v_cndmask_b32_e64 v13, v13, v15, s[0:1]
	v_mul_f32_e32 v14, 0x37800000, v13
	v_cndmask_b32_e32 v13, v13, v14, vcc
	v_cmp_class_f32_e32 vcc, v11, v9
	v_cndmask_b32_e32 v11, v13, v11, vcc
	v_cmp_nge_f32_e32 vcc, 1.0, v11
	v_cndmask_b32_e32 v3, v12, v3, vcc
	s_cbranch_scc1 .LBB20_16
; %bb.17:
	v_mul_f32_e32 v4, 4.0, v4
	s_mov_b32 s3, 0x461c4000
	v_div_scale_f32 v9, s[0:1], s3, s3, v4
	v_rcp_f32_e32 v10, v9
	v_mul_f32_e32 v2, 4.0, v2
	v_mul_f32_e32 v1, 4.0, v1
	;; [unrolled: 1-line block ×3, first 2 shown]
	v_fma_f32 v11, -v9, v10, 1.0
	v_fmac_f32_e32 v10, v11, v10
	v_div_scale_f32 v11, vcc, v4, s3, v4
	v_mul_f32_e32 v12, v11, v10
	v_fma_f32 v13, -v9, v12, v11
	v_fmac_f32_e32 v12, v13, v10
	v_fma_f32 v9, -v9, v12, v11
	v_div_scale_f32 v11, s[0:1], s3, s3, v2
	v_rcp_f32_e32 v13, v11
	v_div_fmas_f32 v9, v9, v10, v12
	v_div_fixup_f32 v4, v9, s3, v4
	v_mul_f32_e32 v6, 4.0, v6
	v_fma_f32 v9, -v11, v13, 1.0
	v_fmac_f32_e32 v13, v9, v13
	v_div_scale_f32 v9, vcc, v2, s3, v2
	v_mul_f32_e32 v10, v9, v13
	v_fma_f32 v12, -v11, v10, v9
	v_fmac_f32_e32 v10, v12, v13
	v_fma_f32 v9, -v11, v10, v9
	v_div_scale_f32 v11, s[0:1], s3, s3, v1
	v_rcp_f32_e32 v12, v11
	v_div_fmas_f32 v9, v9, v13, v10
	v_div_fixup_f32 v2, v9, s3, v2
	v_mul_f32_e32 v7, 4.0, v7
	;; [unrolled: 12-line block ×4, first 2 shown]
	v_fma_f32 v9, -v11, v12, 1.0
	v_fmac_f32_e32 v12, v9, v12
	v_div_scale_f32 v9, vcc, v6, s3, v6
	v_mul_f32_e32 v10, v9, v12
	v_fma_f32 v13, -v11, v10, v9
	v_fmac_f32_e32 v10, v13, v12
	v_fma_f32 v9, -v11, v10, v9
	v_div_scale_f32 v11, s[0:1], s3, s3, v7
	v_rcp_f32_e32 v13, v11
	v_div_fmas_f32 v9, v9, v12, v10
	v_div_fixup_f32 v6, v9, s3, v6
	v_add_f32_e32 v1, v1, v2
	v_fma_f32 v9, -v11, v13, 1.0
	v_fmac_f32_e32 v13, v9, v13
	v_div_scale_f32 v9, vcc, v7, s3, v7
	v_mul_f32_e32 v10, v9, v13
	v_fma_f32 v12, -v11, v10, v9
	v_fmac_f32_e32 v10, v12, v13
	v_fma_f32 v9, -v11, v10, v9
	v_div_scale_f32 v11, s[0:1], s3, s3, v8
	v_rcp_f32_e32 v12, v11
	v_div_fmas_f32 v9, v9, v13, v10
	v_div_fixup_f32 v7, v9, s3, v7
	v_add_f32_e32 v1, v1, v4
	;; [unrolled: 12-line block ×3, first 2 shown]
	v_fma_f32 v9, -v11, v13, 1.0
	v_fmac_f32_e32 v13, v9, v13
	v_div_scale_f32 v9, vcc, v3, s3, v3
	v_mul_f32_e32 v10, v9, v13
	v_fma_f32 v12, -v11, v10, v9
	v_fmac_f32_e32 v10, v12, v13
	v_fma_f32 v9, -v11, v10, v9
	v_add_f32_e32 v1, v1, v6
	v_div_fmas_f32 v9, v9, v13, v10
	v_add_f32_e32 v1, v1, v7
	v_div_fixup_f32 v3, v9, s3, v3
	v_add_f32_e32 v1, v1, v8
	v_add_f32_e32 v2, v1, v3
	v_mbcnt_lo_u32_b32 v1, -1, 0
	v_mbcnt_hi_u32_b32 v1, -1, v1
	v_add_f32_dpp v2, v2, v2 quad_perm:[1,0,3,2] row_mask:0xf bank_mask:0xf bound_ctrl:1
	v_lshlrev_b32_e32 v3, 2, v1
	v_or_b32_e32 v4, 0xfc, v3
	v_add_f32_dpp v2, v2, v2 quad_perm:[2,3,0,1] row_mask:0xf bank_mask:0xf bound_ctrl:1
	v_cmp_eq_u32_e32 vcc, 0, v1
	s_nop 0
	v_add_f32_dpp v2, v2, v2 row_ror:4 row_mask:0xf bank_mask:0xf bound_ctrl:1
	s_nop 1
	v_add_f32_dpp v2, v2, v2 row_ror:8 row_mask:0xf bank_mask:0xf bound_ctrl:1
	s_nop 1
	v_add_f32_dpp v2, v2, v2 row_bcast:15 row_mask:0xf bank_mask:0xf bound_ctrl:1
	s_nop 1
	v_add_f32_dpp v2, v2, v2 row_bcast:31 row_mask:0xf bank_mask:0xf bound_ctrl:1
	ds_bpermute_b32 v2, v4, v2
	s_and_saveexec_b64 s[0:1], vcc
	s_cbranch_execz .LBB20_19
; %bb.18:
	v_lshrrev_b32_e32 v4, 4, v0
	v_and_b32_e32 v4, 4, v4
	s_waitcnt lgkmcnt(0)
	ds_write_b32 v4, v2
.LBB20_19:
	s_or_b64 exec, exec, s[0:1]
	v_cmp_gt_u32_e32 vcc, 64, v0
	s_waitcnt lgkmcnt(0)
	s_barrier
	s_and_saveexec_b64 s[0:1], vcc
	s_cbranch_execz .LBB20_21
; %bb.20:
	v_and_b32_e32 v1, 1, v1
	v_lshlrev_b32_e32 v1, 2, v1
	ds_read_b32 v1, v1
	v_or_b32_e32 v2, 4, v3
	s_waitcnt lgkmcnt(0)
	ds_bpermute_b32 v2, v2, v1
	s_waitcnt lgkmcnt(0)
	v_add_f32_e32 v2, v1, v2
.LBB20_21:
	s_or_b64 exec, exec, s[0:1]
	s_load_dword s29, s[4:5], 0x30
	s_branch .LBB20_60
.LBB20_22:
                                        ; implicit-def: $vgpr2
	s_load_dword s29, s[4:5], 0x30
	s_cbranch_execz .LBB20_60
; %bb.23:
	s_sub_i32 s30, s18, s2
	v_cmp_gt_u32_e32 vcc, s30, v0
                                        ; implicit-def: $vgpr2_vgpr3_vgpr4_vgpr5_vgpr6_vgpr7_vgpr8_vgpr9
	s_and_saveexec_b64 s[2:3], vcc
	s_cbranch_execz .LBB20_27
; %bb.24:
	v_add_u32_e32 v1, s28, v0
	v_lshlrev_b32_e32 v2, 12, v1
	s_mov_b32 s0, 0x7ed55d16
	v_add3_u32 v1, v1, v2, s0
	v_lshrrev_b32_e32 v2, 19, v1
	v_xor_b32_e32 v1, v1, v2
	v_xor_b32_e32 v1, 0xc761c23c, v1
	v_lshl_add_u32 v1, v1, 5, v1
	v_mov_b32_e32 v3, 0xaccf6200
	v_add_u32_e32 v2, 0xe9f8cc1d, v1
	v_lshl_add_u32 v1, v1, 9, v3
	v_xor_b32_e32 v1, v2, v1
	v_lshlrev_b32_e32 v2, 3, v1
	s_mov_b32 s0, 0xfd7046c5
	v_add3_u32 v1, v1, v2, s0
	v_xor_b32_sdwa v1, v1, v1 dst_sel:DWORD dst_unused:UNUSED_PAD src0_sel:DWORD src1_sel:WORD_1
	v_xor_b32_e32 v1, 0xb55a4f09, v1
	v_mul_hi_u32 v2, v1, 3
	v_sub_u32_e32 v3, v1, v2
	v_lshrrev_b32_e32 v3, 1, v3
	v_add_u32_e32 v2, v3, v2
	v_lshrrev_b32_e32 v2, 30, v2
	s_brev_b32 s0, -2
	v_mul_lo_u32 v2, v2, s0
	v_sub_u32_e32 v1, v1, v2
	v_max_u32_e32 v3, 1, v1
	s_movk_i32 s4, 0x2710
	v_mov_b32_e32 v2, 0
	s_mov_b32 s5, 0xbc8f1391
	s_mov_b32 s8, 0xbc8f
	s_brev_b32 s9, 12
	s_mov_b32 s10, 0xf800000
	v_mov_b32_e32 v1, 0x260
.LBB20_25:                              ; =>This Inner Loop Header: Depth=1
	v_mul_hi_u32 v4, v3, s5
	v_lshrrev_b32_e32 v4, 15, v4
	v_mul_u32_u24_e32 v6, 0xadc8, v4
	v_sub_u32_e32 v3, v3, v6
	v_mul_u32_u24_e32 v4, 0xd47, v4
	v_mul_lo_u32 v3, v3, s8
	v_xor_b32_e32 v6, 0x7fffffff, v4
	v_sub_u32_e32 v7, 0, v4
	v_cmp_lt_u32_e32 vcc, v3, v4
	v_cndmask_b32_e32 v4, v7, v6, vcc
	v_add_u32_e32 v3, v4, v3
	v_mul_hi_u32 v6, v3, s5
	v_lshrrev_b32_e32 v6, 15, v6
	v_mul_u32_u24_e32 v7, 0xadc8, v6
	v_add_u32_e32 v4, -1, v3
	v_sub_u32_e32 v3, v3, v7
	v_mul_u32_u24_e32 v6, 0xd47, v6
	v_mul_lo_u32 v3, v3, s8
	v_xor_b32_e32 v7, 0x7fffffff, v6
	v_sub_u32_e32 v8, 0, v6
	v_cmp_lt_u32_e32 vcc, v3, v6
	v_cndmask_b32_e32 v6, v8, v7, vcc
	v_add_u32_e32 v3, v6, v3
	v_mul_hi_u32 v7, v3, s5
	v_add_u32_e32 v6, -1, v3
	v_lshrrev_b32_e32 v7, 15, v7
	v_cvt_f32_u32_e32 v6, v6
	v_mul_u32_u24_e32 v8, 0xadc8, v7
	v_cvt_f32_u32_e32 v4, v4
	v_sub_u32_e32 v3, v3, v8
	v_mul_u32_u24_e32 v7, 0xd47, v7
	v_mul_lo_u32 v3, v3, s8
	v_xor_b32_e32 v8, 0x7fffffff, v7
	v_sub_u32_e32 v9, 0, v7
	v_cmp_lt_u32_e32 vcc, v3, v7
	v_fma_f32 v6, v6, s9, 0
	v_cndmask_b32_e32 v7, v9, v8, vcc
	v_fma_f32 v4, v4, s9, 0
	v_mul_f32_e32 v6, v6, v6
	v_add_u32_e32 v3, v7, v3
	v_fmac_f32_e32 v6, v4, v4
	v_mul_hi_u32 v7, v3, s5
	v_mul_f32_e32 v8, 0x4f800000, v6
	v_lshrrev_b32_e32 v7, 15, v7
	v_cmp_gt_f32_e32 vcc, s10, v6
	v_cndmask_b32_e32 v6, v6, v8, vcc
	v_mul_u32_u24_e32 v8, 0xadc8, v7
	v_add_u32_e32 v4, -1, v3
	v_sqrt_f32_e32 v9, v6
	v_sub_u32_e32 v3, v3, v8
	v_mul_u32_u24_e32 v7, 0xd47, v7
	v_mul_lo_u32 v3, v3, s8
	v_xor_b32_e32 v8, 0x7fffffff, v7
	v_sub_u32_e32 v10, 0, v7
	v_cmp_lt_u32_e64 s[0:1], v3, v7
	v_cndmask_b32_e64 v7, v10, v8, s[0:1]
	v_add_u32_e32 v3, v7, v3
	v_add_u32_e32 v7, -1, v9
	v_add_u32_e32 v8, 1, v9
	v_add_u32_e32 v10, -1, v3
	v_fma_f32 v11, -v7, v9, v6
	v_fma_f32 v12, -v8, v9, v6
	v_cvt_f32_u32_e32 v10, v10
	v_cmp_ge_f32_e64 s[0:1], 0, v11
	v_cvt_f32_u32_e32 v4, v4
	v_cndmask_b32_e64 v7, v9, v7, s[0:1]
	v_cmp_lt_f32_e64 s[0:1], 0, v12
	v_cndmask_b32_e64 v7, v7, v8, s[0:1]
	v_mul_f32_e32 v8, 0x37800000, v7
	v_cndmask_b32_e32 v7, v7, v8, vcc
	v_fma_f32 v8, v10, s9, 0
	v_cmp_class_f32_e32 vcc, v6, v1
	v_fma_f32 v4, v4, s9, 0
	v_cndmask_b32_e32 v6, v7, v6, vcc
	v_mul_f32_e32 v7, v8, v8
	v_add_f32_e32 v5, 1.0, v2
	v_cmp_nge_f32_e32 vcc, 1.0, v6
	v_fmac_f32_e32 v7, v4, v4
	v_cndmask_b32_e32 v2, v5, v2, vcc
	v_mul_f32_e32 v4, 0x4f800000, v7
	v_cmp_gt_f32_e32 vcc, s10, v7
	v_cndmask_b32_e32 v4, v7, v4, vcc
	v_sqrt_f32_e32 v6, v4
	s_add_i32 s4, s4, -2
	v_add_f32_e32 v5, 1.0, v2
	s_cmp_lg_u32 s4, 0
	v_add_u32_e32 v7, -1, v6
	v_add_u32_e32 v8, 1, v6
	v_fma_f32 v9, -v7, v6, v4
	v_fma_f32 v10, -v8, v6, v4
	v_cmp_ge_f32_e64 s[0:1], 0, v9
	v_cndmask_b32_e64 v6, v6, v7, s[0:1]
	v_cmp_lt_f32_e64 s[0:1], 0, v10
	v_cndmask_b32_e64 v6, v6, v8, s[0:1]
	v_mul_f32_e32 v7, 0x37800000, v6
	v_cndmask_b32_e32 v6, v6, v7, vcc
	v_cmp_class_f32_e32 vcc, v4, v1
	v_cndmask_b32_e32 v4, v6, v4, vcc
	v_cmp_nge_f32_e32 vcc, 1.0, v4
	v_cndmask_b32_e32 v2, v5, v2, vcc
	s_cbranch_scc1 .LBB20_25
; %bb.26:
	v_mul_f32_e32 v1, 4.0, v2
	s_mov_b32 s4, 0x461c4000
	v_div_scale_f32 v2, s[0:1], s4, s4, v1
	v_rcp_f32_e32 v3, v2
	v_fma_f32 v4, -v2, v3, 1.0
	v_fmac_f32_e32 v3, v4, v3
	v_div_scale_f32 v4, vcc, v1, s4, v1
	v_mul_f32_e32 v5, v4, v3
	v_fma_f32 v6, -v2, v5, v4
	v_fmac_f32_e32 v5, v6, v3
	v_fma_f32 v2, -v2, v5, v4
	v_div_fmas_f32 v2, v2, v3, v5
	v_div_fixup_f32 v2, v2, s4, v1
.LBB20_27:
	s_or_b64 exec, exec, s[2:3]
	v_or_b32_e32 v1, 0x80, v0
	v_cmp_gt_u32_e64 s[0:1], s30, v1
	s_and_saveexec_b64 s[4:5], s[0:1]
	s_cbranch_execz .LBB20_31
; %bb.28:
	v_add_u32_e32 v1, s28, v1
	v_lshlrev_b32_e32 v3, 12, v1
	s_mov_b32 s2, 0x7ed55d16
	v_add3_u32 v1, v1, v3, s2
	v_lshrrev_b32_e32 v3, 19, v1
	v_xor_b32_e32 v1, v1, v3
	v_xor_b32_e32 v1, 0xc761c23c, v1
	v_lshl_add_u32 v1, v1, 5, v1
	v_mov_b32_e32 v10, 0xaccf6200
	v_add_u32_e32 v3, 0xe9f8cc1d, v1
	v_lshl_add_u32 v1, v1, 9, v10
	v_xor_b32_e32 v1, v3, v1
	v_lshlrev_b32_e32 v3, 3, v1
	s_mov_b32 s2, 0xfd7046c5
	v_add3_u32 v1, v1, v3, s2
	v_xor_b32_sdwa v1, v1, v1 dst_sel:DWORD dst_unused:UNUSED_PAD src0_sel:DWORD src1_sel:WORD_1
	v_xor_b32_e32 v1, 0xb55a4f09, v1
	v_mul_hi_u32 v3, v1, 3
	v_sub_u32_e32 v10, v1, v3
	v_lshrrev_b32_e32 v10, 1, v10
	v_add_u32_e32 v3, v10, v3
	v_lshrrev_b32_e32 v3, 30, v3
	s_brev_b32 s2, -2
	v_mul_lo_u32 v3, v3, s2
	v_sub_u32_e32 v1, v1, v3
	v_max_u32_e32 v10, 1, v1
	s_movk_i32 s8, 0x2710
	v_mov_b32_e32 v3, 0
	s_mov_b32 s9, 0xbc8f1391
	s_mov_b32 s10, 0xbc8f
	s_brev_b32 s11, 12
	s_mov_b32 s12, 0xf800000
	v_mov_b32_e32 v1, 0x260
.LBB20_29:                              ; =>This Inner Loop Header: Depth=1
	v_mul_hi_u32 v11, v10, s9
	v_lshrrev_b32_e32 v11, 15, v11
	v_mul_u32_u24_e32 v13, 0xadc8, v11
	v_sub_u32_e32 v10, v10, v13
	v_mul_u32_u24_e32 v11, 0xd47, v11
	v_mul_lo_u32 v10, v10, s10
	v_xor_b32_e32 v13, 0x7fffffff, v11
	v_sub_u32_e32 v14, 0, v11
	v_cmp_lt_u32_e32 vcc, v10, v11
	v_cndmask_b32_e32 v11, v14, v13, vcc
	v_add_u32_e32 v10, v11, v10
	v_mul_hi_u32 v13, v10, s9
	v_lshrrev_b32_e32 v13, 15, v13
	v_mul_u32_u24_e32 v14, 0xadc8, v13
	v_add_u32_e32 v11, -1, v10
	v_sub_u32_e32 v10, v10, v14
	v_mul_u32_u24_e32 v13, 0xd47, v13
	v_mul_lo_u32 v10, v10, s10
	v_xor_b32_e32 v14, 0x7fffffff, v13
	v_sub_u32_e32 v15, 0, v13
	v_cmp_lt_u32_e32 vcc, v10, v13
	v_cndmask_b32_e32 v13, v15, v14, vcc
	v_add_u32_e32 v10, v13, v10
	v_mul_hi_u32 v14, v10, s9
	v_add_u32_e32 v13, -1, v10
	v_lshrrev_b32_e32 v14, 15, v14
	v_cvt_f32_u32_e32 v13, v13
	v_mul_u32_u24_e32 v15, 0xadc8, v14
	v_cvt_f32_u32_e32 v11, v11
	v_sub_u32_e32 v10, v10, v15
	v_mul_u32_u24_e32 v14, 0xd47, v14
	v_mul_lo_u32 v10, v10, s10
	v_xor_b32_e32 v15, 0x7fffffff, v14
	v_sub_u32_e32 v16, 0, v14
	v_cmp_lt_u32_e32 vcc, v10, v14
	v_fma_f32 v13, v13, s11, 0
	v_cndmask_b32_e32 v14, v16, v15, vcc
	v_fma_f32 v11, v11, s11, 0
	v_mul_f32_e32 v13, v13, v13
	v_add_u32_e32 v10, v14, v10
	v_fmac_f32_e32 v13, v11, v11
	v_mul_hi_u32 v14, v10, s9
	v_mul_f32_e32 v15, 0x4f800000, v13
	v_lshrrev_b32_e32 v14, 15, v14
	v_cmp_gt_f32_e32 vcc, s12, v13
	v_cndmask_b32_e32 v13, v13, v15, vcc
	v_mul_u32_u24_e32 v15, 0xadc8, v14
	v_add_u32_e32 v11, -1, v10
	v_sqrt_f32_e32 v16, v13
	v_sub_u32_e32 v10, v10, v15
	v_mul_u32_u24_e32 v14, 0xd47, v14
	v_mul_lo_u32 v10, v10, s10
	v_xor_b32_e32 v15, 0x7fffffff, v14
	v_sub_u32_e32 v17, 0, v14
	v_cmp_lt_u32_e64 s[2:3], v10, v14
	v_cndmask_b32_e64 v14, v17, v15, s[2:3]
	v_add_u32_e32 v10, v14, v10
	v_add_u32_e32 v14, -1, v16
	v_add_u32_e32 v15, 1, v16
	v_add_u32_e32 v17, -1, v10
	v_fma_f32 v18, -v14, v16, v13
	v_fma_f32 v19, -v15, v16, v13
	v_cvt_f32_u32_e32 v17, v17
	v_cmp_ge_f32_e64 s[2:3], 0, v18
	v_cvt_f32_u32_e32 v11, v11
	v_cndmask_b32_e64 v14, v16, v14, s[2:3]
	v_cmp_lt_f32_e64 s[2:3], 0, v19
	v_cndmask_b32_e64 v14, v14, v15, s[2:3]
	v_mul_f32_e32 v15, 0x37800000, v14
	v_cndmask_b32_e32 v14, v14, v15, vcc
	v_fma_f32 v15, v17, s11, 0
	v_cmp_class_f32_e32 vcc, v13, v1
	v_fma_f32 v11, v11, s11, 0
	v_cndmask_b32_e32 v13, v14, v13, vcc
	v_mul_f32_e32 v14, v15, v15
	v_add_f32_e32 v12, 1.0, v3
	v_cmp_nge_f32_e32 vcc, 1.0, v13
	v_fmac_f32_e32 v14, v11, v11
	v_cndmask_b32_e32 v3, v12, v3, vcc
	v_mul_f32_e32 v11, 0x4f800000, v14
	v_cmp_gt_f32_e32 vcc, s12, v14
	v_cndmask_b32_e32 v11, v14, v11, vcc
	v_sqrt_f32_e32 v13, v11
	s_add_i32 s8, s8, -2
	v_add_f32_e32 v12, 1.0, v3
	s_cmp_lg_u32 s8, 0
	v_add_u32_e32 v14, -1, v13
	v_add_u32_e32 v15, 1, v13
	v_fma_f32 v16, -v14, v13, v11
	v_fma_f32 v17, -v15, v13, v11
	v_cmp_ge_f32_e64 s[2:3], 0, v16
	v_cndmask_b32_e64 v13, v13, v14, s[2:3]
	v_cmp_lt_f32_e64 s[2:3], 0, v17
	v_cndmask_b32_e64 v13, v13, v15, s[2:3]
	v_mul_f32_e32 v14, 0x37800000, v13
	v_cndmask_b32_e32 v13, v13, v14, vcc
	v_cmp_class_f32_e32 vcc, v11, v1
	v_cndmask_b32_e32 v11, v13, v11, vcc
	v_cmp_nge_f32_e32 vcc, 1.0, v11
	v_cndmask_b32_e32 v3, v12, v3, vcc
	s_cbranch_scc1 .LBB20_29
; %bb.30:
	v_mul_f32_e32 v1, 4.0, v3
	s_mov_b32 s8, 0x461c4000
	v_div_scale_f32 v3, s[2:3], s8, s8, v1
	v_rcp_f32_e32 v10, v3
	v_fma_f32 v11, -v3, v10, 1.0
	v_fmac_f32_e32 v10, v11, v10
	v_div_scale_f32 v11, vcc, v1, s8, v1
	v_mul_f32_e32 v12, v11, v10
	v_fma_f32 v13, -v3, v12, v11
	v_fmac_f32_e32 v12, v13, v10
	v_fma_f32 v3, -v3, v12, v11
	v_div_fmas_f32 v3, v3, v10, v12
	v_div_fixup_f32 v3, v3, s8, v1
.LBB20_31:
	s_or_b64 exec, exec, s[4:5]
	v_or_b32_e32 v1, 0x100, v0
	v_cmp_gt_u32_e64 s[2:3], s30, v1
	s_and_saveexec_b64 s[8:9], s[2:3]
	s_cbranch_execz .LBB20_35
; %bb.32:
	v_add_u32_e32 v1, s28, v1
	v_lshlrev_b32_e32 v4, 12, v1
	s_mov_b32 s4, 0x7ed55d16
	v_add3_u32 v1, v1, v4, s4
	v_lshrrev_b32_e32 v4, 19, v1
	v_xor_b32_e32 v1, v1, v4
	v_xor_b32_e32 v1, 0xc761c23c, v1
	v_lshl_add_u32 v1, v1, 5, v1
	v_mov_b32_e32 v10, 0xaccf6200
	v_add_u32_e32 v4, 0xe9f8cc1d, v1
	v_lshl_add_u32 v1, v1, 9, v10
	v_xor_b32_e32 v1, v4, v1
	v_lshlrev_b32_e32 v4, 3, v1
	s_mov_b32 s4, 0xfd7046c5
	v_add3_u32 v1, v1, v4, s4
	v_xor_b32_sdwa v1, v1, v1 dst_sel:DWORD dst_unused:UNUSED_PAD src0_sel:DWORD src1_sel:WORD_1
	v_xor_b32_e32 v1, 0xb55a4f09, v1
	v_mul_hi_u32 v4, v1, 3
	v_sub_u32_e32 v10, v1, v4
	v_lshrrev_b32_e32 v10, 1, v10
	v_add_u32_e32 v4, v10, v4
	v_lshrrev_b32_e32 v4, 30, v4
	s_brev_b32 s4, -2
	v_mul_lo_u32 v4, v4, s4
	v_sub_u32_e32 v1, v1, v4
	v_max_u32_e32 v10, 1, v1
	s_movk_i32 s10, 0x2710
	v_mov_b32_e32 v4, 0
	s_mov_b32 s11, 0xbc8f1391
	s_mov_b32 s12, 0xbc8f
	s_brev_b32 s13, 12
	s_mov_b32 s14, 0xf800000
	v_mov_b32_e32 v1, 0x260
.LBB20_33:                              ; =>This Inner Loop Header: Depth=1
	v_mul_hi_u32 v11, v10, s11
	v_lshrrev_b32_e32 v11, 15, v11
	v_mul_u32_u24_e32 v13, 0xadc8, v11
	v_sub_u32_e32 v10, v10, v13
	v_mul_u32_u24_e32 v11, 0xd47, v11
	v_mul_lo_u32 v10, v10, s12
	v_xor_b32_e32 v13, 0x7fffffff, v11
	v_sub_u32_e32 v14, 0, v11
	v_cmp_lt_u32_e32 vcc, v10, v11
	v_cndmask_b32_e32 v11, v14, v13, vcc
	v_add_u32_e32 v10, v11, v10
	v_mul_hi_u32 v13, v10, s11
	v_lshrrev_b32_e32 v13, 15, v13
	v_mul_u32_u24_e32 v14, 0xadc8, v13
	v_add_u32_e32 v11, -1, v10
	v_sub_u32_e32 v10, v10, v14
	v_mul_u32_u24_e32 v13, 0xd47, v13
	v_mul_lo_u32 v10, v10, s12
	v_xor_b32_e32 v14, 0x7fffffff, v13
	v_sub_u32_e32 v15, 0, v13
	v_cmp_lt_u32_e32 vcc, v10, v13
	v_cndmask_b32_e32 v13, v15, v14, vcc
	v_add_u32_e32 v10, v13, v10
	v_mul_hi_u32 v14, v10, s11
	v_add_u32_e32 v13, -1, v10
	v_lshrrev_b32_e32 v14, 15, v14
	v_cvt_f32_u32_e32 v13, v13
	v_mul_u32_u24_e32 v15, 0xadc8, v14
	v_cvt_f32_u32_e32 v11, v11
	v_sub_u32_e32 v10, v10, v15
	v_mul_u32_u24_e32 v14, 0xd47, v14
	v_mul_lo_u32 v10, v10, s12
	v_xor_b32_e32 v15, 0x7fffffff, v14
	v_sub_u32_e32 v16, 0, v14
	v_cmp_lt_u32_e32 vcc, v10, v14
	v_fma_f32 v13, v13, s13, 0
	v_cndmask_b32_e32 v14, v16, v15, vcc
	v_fma_f32 v11, v11, s13, 0
	v_mul_f32_e32 v13, v13, v13
	v_add_u32_e32 v10, v14, v10
	v_fmac_f32_e32 v13, v11, v11
	v_mul_hi_u32 v14, v10, s11
	v_mul_f32_e32 v15, 0x4f800000, v13
	v_lshrrev_b32_e32 v14, 15, v14
	v_cmp_gt_f32_e32 vcc, s14, v13
	v_cndmask_b32_e32 v13, v13, v15, vcc
	v_mul_u32_u24_e32 v15, 0xadc8, v14
	v_add_u32_e32 v11, -1, v10
	v_sqrt_f32_e32 v16, v13
	v_sub_u32_e32 v10, v10, v15
	v_mul_u32_u24_e32 v14, 0xd47, v14
	v_mul_lo_u32 v10, v10, s12
	v_xor_b32_e32 v15, 0x7fffffff, v14
	v_sub_u32_e32 v17, 0, v14
	v_cmp_lt_u32_e64 s[4:5], v10, v14
	v_cndmask_b32_e64 v14, v17, v15, s[4:5]
	v_add_u32_e32 v10, v14, v10
	v_add_u32_e32 v14, -1, v16
	v_add_u32_e32 v15, 1, v16
	v_add_u32_e32 v17, -1, v10
	v_fma_f32 v18, -v14, v16, v13
	v_fma_f32 v19, -v15, v16, v13
	v_cvt_f32_u32_e32 v17, v17
	v_cmp_ge_f32_e64 s[4:5], 0, v18
	v_cvt_f32_u32_e32 v11, v11
	v_cndmask_b32_e64 v14, v16, v14, s[4:5]
	v_cmp_lt_f32_e64 s[4:5], 0, v19
	v_cndmask_b32_e64 v14, v14, v15, s[4:5]
	v_mul_f32_e32 v15, 0x37800000, v14
	v_cndmask_b32_e32 v14, v14, v15, vcc
	v_fma_f32 v15, v17, s13, 0
	v_cmp_class_f32_e32 vcc, v13, v1
	v_fma_f32 v11, v11, s13, 0
	v_cndmask_b32_e32 v13, v14, v13, vcc
	v_mul_f32_e32 v14, v15, v15
	v_add_f32_e32 v12, 1.0, v4
	v_cmp_nge_f32_e32 vcc, 1.0, v13
	v_fmac_f32_e32 v14, v11, v11
	v_cndmask_b32_e32 v4, v12, v4, vcc
	v_mul_f32_e32 v11, 0x4f800000, v14
	v_cmp_gt_f32_e32 vcc, s14, v14
	v_cndmask_b32_e32 v11, v14, v11, vcc
	v_sqrt_f32_e32 v13, v11
	s_add_i32 s10, s10, -2
	v_add_f32_e32 v12, 1.0, v4
	s_cmp_lg_u32 s10, 0
	v_add_u32_e32 v14, -1, v13
	v_add_u32_e32 v15, 1, v13
	v_fma_f32 v16, -v14, v13, v11
	v_fma_f32 v17, -v15, v13, v11
	v_cmp_ge_f32_e64 s[4:5], 0, v16
	v_cndmask_b32_e64 v13, v13, v14, s[4:5]
	v_cmp_lt_f32_e64 s[4:5], 0, v17
	v_cndmask_b32_e64 v13, v13, v15, s[4:5]
	v_mul_f32_e32 v14, 0x37800000, v13
	v_cndmask_b32_e32 v13, v13, v14, vcc
	v_cmp_class_f32_e32 vcc, v11, v1
	v_cndmask_b32_e32 v11, v13, v11, vcc
	v_cmp_nge_f32_e32 vcc, 1.0, v11
	v_cndmask_b32_e32 v4, v12, v4, vcc
	s_cbranch_scc1 .LBB20_33
; %bb.34:
	v_mul_f32_e32 v1, 4.0, v4
	s_mov_b32 s10, 0x461c4000
	v_div_scale_f32 v4, s[4:5], s10, s10, v1
	v_rcp_f32_e32 v10, v4
	v_fma_f32 v11, -v4, v10, 1.0
	v_fmac_f32_e32 v10, v11, v10
	v_div_scale_f32 v11, vcc, v1, s10, v1
	v_mul_f32_e32 v12, v11, v10
	v_fma_f32 v13, -v4, v12, v11
	v_fmac_f32_e32 v12, v13, v10
	v_fma_f32 v4, -v4, v12, v11
	v_div_fmas_f32 v4, v4, v10, v12
	v_div_fixup_f32 v4, v4, s10, v1
.LBB20_35:
	s_or_b64 exec, exec, s[8:9]
	v_or_b32_e32 v1, 0x180, v0
	v_cmp_gt_u32_e64 s[4:5], s30, v1
	s_and_saveexec_b64 s[10:11], s[4:5]
	s_cbranch_execz .LBB20_39
; %bb.36:
	v_add_u32_e32 v1, s28, v1
	v_lshlrev_b32_e32 v5, 12, v1
	s_mov_b32 s8, 0x7ed55d16
	v_add3_u32 v1, v1, v5, s8
	v_lshrrev_b32_e32 v5, 19, v1
	v_xor_b32_e32 v1, v1, v5
	v_xor_b32_e32 v1, 0xc761c23c, v1
	v_lshl_add_u32 v1, v1, 5, v1
	v_mov_b32_e32 v10, 0xaccf6200
	v_add_u32_e32 v5, 0xe9f8cc1d, v1
	v_lshl_add_u32 v1, v1, 9, v10
	v_xor_b32_e32 v1, v5, v1
	v_lshlrev_b32_e32 v5, 3, v1
	s_mov_b32 s8, 0xfd7046c5
	v_add3_u32 v1, v1, v5, s8
	v_xor_b32_sdwa v1, v1, v1 dst_sel:DWORD dst_unused:UNUSED_PAD src0_sel:DWORD src1_sel:WORD_1
	v_xor_b32_e32 v1, 0xb55a4f09, v1
	v_mul_hi_u32 v5, v1, 3
	v_sub_u32_e32 v10, v1, v5
	v_lshrrev_b32_e32 v10, 1, v10
	v_add_u32_e32 v5, v10, v5
	v_lshrrev_b32_e32 v5, 30, v5
	s_brev_b32 s8, -2
	v_mul_lo_u32 v5, v5, s8
	v_sub_u32_e32 v1, v1, v5
	v_max_u32_e32 v10, 1, v1
	s_movk_i32 s12, 0x2710
	v_mov_b32_e32 v5, 0
	s_mov_b32 s13, 0xbc8f1391
	s_mov_b32 s14, 0xbc8f
	s_brev_b32 s15, 12
	s_mov_b32 s16, 0xf800000
	v_mov_b32_e32 v1, 0x260
.LBB20_37:                              ; =>This Inner Loop Header: Depth=1
	v_mul_hi_u32 v11, v10, s13
	v_lshrrev_b32_e32 v11, 15, v11
	v_mul_u32_u24_e32 v13, 0xadc8, v11
	v_sub_u32_e32 v10, v10, v13
	v_mul_u32_u24_e32 v11, 0xd47, v11
	v_mul_lo_u32 v10, v10, s14
	v_xor_b32_e32 v13, 0x7fffffff, v11
	v_sub_u32_e32 v14, 0, v11
	v_cmp_lt_u32_e32 vcc, v10, v11
	v_cndmask_b32_e32 v11, v14, v13, vcc
	v_add_u32_e32 v10, v11, v10
	v_mul_hi_u32 v13, v10, s13
	v_lshrrev_b32_e32 v13, 15, v13
	v_mul_u32_u24_e32 v14, 0xadc8, v13
	v_add_u32_e32 v11, -1, v10
	v_sub_u32_e32 v10, v10, v14
	v_mul_u32_u24_e32 v13, 0xd47, v13
	v_mul_lo_u32 v10, v10, s14
	v_xor_b32_e32 v14, 0x7fffffff, v13
	v_sub_u32_e32 v15, 0, v13
	v_cmp_lt_u32_e32 vcc, v10, v13
	v_cndmask_b32_e32 v13, v15, v14, vcc
	v_add_u32_e32 v10, v13, v10
	v_mul_hi_u32 v14, v10, s13
	v_add_u32_e32 v13, -1, v10
	v_lshrrev_b32_e32 v14, 15, v14
	v_cvt_f32_u32_e32 v13, v13
	v_mul_u32_u24_e32 v15, 0xadc8, v14
	v_cvt_f32_u32_e32 v11, v11
	v_sub_u32_e32 v10, v10, v15
	v_mul_u32_u24_e32 v14, 0xd47, v14
	v_mul_lo_u32 v10, v10, s14
	v_xor_b32_e32 v15, 0x7fffffff, v14
	v_sub_u32_e32 v16, 0, v14
	v_cmp_lt_u32_e32 vcc, v10, v14
	v_fma_f32 v13, v13, s15, 0
	v_cndmask_b32_e32 v14, v16, v15, vcc
	v_fma_f32 v11, v11, s15, 0
	v_mul_f32_e32 v13, v13, v13
	v_add_u32_e32 v10, v14, v10
	v_fmac_f32_e32 v13, v11, v11
	v_mul_hi_u32 v14, v10, s13
	v_mul_f32_e32 v15, 0x4f800000, v13
	v_lshrrev_b32_e32 v14, 15, v14
	v_cmp_gt_f32_e32 vcc, s16, v13
	v_cndmask_b32_e32 v13, v13, v15, vcc
	v_mul_u32_u24_e32 v15, 0xadc8, v14
	v_add_u32_e32 v11, -1, v10
	v_sqrt_f32_e32 v16, v13
	v_sub_u32_e32 v10, v10, v15
	v_mul_u32_u24_e32 v14, 0xd47, v14
	v_mul_lo_u32 v10, v10, s14
	v_xor_b32_e32 v15, 0x7fffffff, v14
	v_sub_u32_e32 v17, 0, v14
	v_cmp_lt_u32_e64 s[8:9], v10, v14
	v_cndmask_b32_e64 v14, v17, v15, s[8:9]
	v_add_u32_e32 v10, v14, v10
	v_add_u32_e32 v14, -1, v16
	v_add_u32_e32 v15, 1, v16
	v_add_u32_e32 v17, -1, v10
	v_fma_f32 v18, -v14, v16, v13
	v_fma_f32 v19, -v15, v16, v13
	v_cvt_f32_u32_e32 v17, v17
	v_cmp_ge_f32_e64 s[8:9], 0, v18
	v_cvt_f32_u32_e32 v11, v11
	v_cndmask_b32_e64 v14, v16, v14, s[8:9]
	v_cmp_lt_f32_e64 s[8:9], 0, v19
	v_cndmask_b32_e64 v14, v14, v15, s[8:9]
	v_mul_f32_e32 v15, 0x37800000, v14
	v_cndmask_b32_e32 v14, v14, v15, vcc
	v_fma_f32 v15, v17, s15, 0
	v_cmp_class_f32_e32 vcc, v13, v1
	v_fma_f32 v11, v11, s15, 0
	v_cndmask_b32_e32 v13, v14, v13, vcc
	v_mul_f32_e32 v14, v15, v15
	v_add_f32_e32 v12, 1.0, v5
	v_cmp_nge_f32_e32 vcc, 1.0, v13
	v_fmac_f32_e32 v14, v11, v11
	v_cndmask_b32_e32 v5, v12, v5, vcc
	v_mul_f32_e32 v11, 0x4f800000, v14
	v_cmp_gt_f32_e32 vcc, s16, v14
	v_cndmask_b32_e32 v11, v14, v11, vcc
	v_sqrt_f32_e32 v13, v11
	s_add_i32 s12, s12, -2
	v_add_f32_e32 v12, 1.0, v5
	s_cmp_lg_u32 s12, 0
	v_add_u32_e32 v14, -1, v13
	v_add_u32_e32 v15, 1, v13
	v_fma_f32 v16, -v14, v13, v11
	v_fma_f32 v17, -v15, v13, v11
	v_cmp_ge_f32_e64 s[8:9], 0, v16
	v_cndmask_b32_e64 v13, v13, v14, s[8:9]
	v_cmp_lt_f32_e64 s[8:9], 0, v17
	v_cndmask_b32_e64 v13, v13, v15, s[8:9]
	v_mul_f32_e32 v14, 0x37800000, v13
	v_cndmask_b32_e32 v13, v13, v14, vcc
	v_cmp_class_f32_e32 vcc, v11, v1
	v_cndmask_b32_e32 v11, v13, v11, vcc
	v_cmp_nge_f32_e32 vcc, 1.0, v11
	v_cndmask_b32_e32 v5, v12, v5, vcc
	s_cbranch_scc1 .LBB20_37
; %bb.38:
	v_mul_f32_e32 v1, 4.0, v5
	s_mov_b32 s12, 0x461c4000
	v_div_scale_f32 v5, s[8:9], s12, s12, v1
	v_rcp_f32_e32 v10, v5
	v_fma_f32 v11, -v5, v10, 1.0
	v_fmac_f32_e32 v10, v11, v10
	v_div_scale_f32 v11, vcc, v1, s12, v1
	v_mul_f32_e32 v12, v11, v10
	v_fma_f32 v13, -v5, v12, v11
	v_fmac_f32_e32 v12, v13, v10
	v_fma_f32 v5, -v5, v12, v11
	v_div_fmas_f32 v5, v5, v10, v12
	v_div_fixup_f32 v5, v5, s12, v1
.LBB20_39:
	s_or_b64 exec, exec, s[10:11]
	v_or_b32_e32 v1, 0x200, v0
	v_cmp_gt_u32_e64 s[8:9], s30, v1
	s_and_saveexec_b64 s[12:13], s[8:9]
	s_cbranch_execz .LBB20_43
; %bb.40:
	v_add_u32_e32 v1, s28, v1
	v_lshlrev_b32_e32 v6, 12, v1
	s_mov_b32 s10, 0x7ed55d16
	v_add3_u32 v1, v1, v6, s10
	v_lshrrev_b32_e32 v6, 19, v1
	v_xor_b32_e32 v1, v1, v6
	v_xor_b32_e32 v1, 0xc761c23c, v1
	v_lshl_add_u32 v1, v1, 5, v1
	v_mov_b32_e32 v10, 0xaccf6200
	v_add_u32_e32 v6, 0xe9f8cc1d, v1
	v_lshl_add_u32 v1, v1, 9, v10
	v_xor_b32_e32 v1, v6, v1
	v_lshlrev_b32_e32 v6, 3, v1
	s_mov_b32 s10, 0xfd7046c5
	v_add3_u32 v1, v1, v6, s10
	v_xor_b32_sdwa v1, v1, v1 dst_sel:DWORD dst_unused:UNUSED_PAD src0_sel:DWORD src1_sel:WORD_1
	v_xor_b32_e32 v1, 0xb55a4f09, v1
	v_mul_hi_u32 v6, v1, 3
	v_sub_u32_e32 v10, v1, v6
	v_lshrrev_b32_e32 v10, 1, v10
	v_add_u32_e32 v6, v10, v6
	v_lshrrev_b32_e32 v6, 30, v6
	s_brev_b32 s10, -2
	v_mul_lo_u32 v6, v6, s10
	v_sub_u32_e32 v1, v1, v6
	v_max_u32_e32 v10, 1, v1
	s_movk_i32 s14, 0x2710
	v_mov_b32_e32 v6, 0
	s_mov_b32 s15, 0xbc8f1391
	s_mov_b32 s16, 0xbc8f
	s_brev_b32 s17, 12
	s_mov_b32 s26, 0xf800000
	v_mov_b32_e32 v1, 0x260
.LBB20_41:                              ; =>This Inner Loop Header: Depth=1
	v_mul_hi_u32 v11, v10, s15
	v_lshrrev_b32_e32 v11, 15, v11
	v_mul_u32_u24_e32 v13, 0xadc8, v11
	v_sub_u32_e32 v10, v10, v13
	v_mul_u32_u24_e32 v11, 0xd47, v11
	v_mul_lo_u32 v10, v10, s16
	v_xor_b32_e32 v13, 0x7fffffff, v11
	v_sub_u32_e32 v14, 0, v11
	v_cmp_lt_u32_e32 vcc, v10, v11
	v_cndmask_b32_e32 v11, v14, v13, vcc
	v_add_u32_e32 v10, v11, v10
	v_mul_hi_u32 v13, v10, s15
	v_lshrrev_b32_e32 v13, 15, v13
	v_mul_u32_u24_e32 v14, 0xadc8, v13
	v_add_u32_e32 v11, -1, v10
	v_sub_u32_e32 v10, v10, v14
	v_mul_u32_u24_e32 v13, 0xd47, v13
	v_mul_lo_u32 v10, v10, s16
	v_xor_b32_e32 v14, 0x7fffffff, v13
	v_sub_u32_e32 v15, 0, v13
	v_cmp_lt_u32_e32 vcc, v10, v13
	v_cndmask_b32_e32 v13, v15, v14, vcc
	v_add_u32_e32 v10, v13, v10
	v_mul_hi_u32 v14, v10, s15
	v_add_u32_e32 v13, -1, v10
	v_lshrrev_b32_e32 v14, 15, v14
	v_cvt_f32_u32_e32 v13, v13
	v_mul_u32_u24_e32 v15, 0xadc8, v14
	v_cvt_f32_u32_e32 v11, v11
	v_sub_u32_e32 v10, v10, v15
	v_mul_u32_u24_e32 v14, 0xd47, v14
	v_mul_lo_u32 v10, v10, s16
	v_xor_b32_e32 v15, 0x7fffffff, v14
	v_sub_u32_e32 v16, 0, v14
	v_cmp_lt_u32_e32 vcc, v10, v14
	v_fma_f32 v13, v13, s17, 0
	v_cndmask_b32_e32 v14, v16, v15, vcc
	v_fma_f32 v11, v11, s17, 0
	v_mul_f32_e32 v13, v13, v13
	v_add_u32_e32 v10, v14, v10
	v_fmac_f32_e32 v13, v11, v11
	v_mul_hi_u32 v14, v10, s15
	v_mul_f32_e32 v15, 0x4f800000, v13
	v_lshrrev_b32_e32 v14, 15, v14
	v_cmp_gt_f32_e32 vcc, s26, v13
	v_cndmask_b32_e32 v13, v13, v15, vcc
	v_mul_u32_u24_e32 v15, 0xadc8, v14
	v_add_u32_e32 v11, -1, v10
	v_sqrt_f32_e32 v16, v13
	v_sub_u32_e32 v10, v10, v15
	v_mul_u32_u24_e32 v14, 0xd47, v14
	v_mul_lo_u32 v10, v10, s16
	v_xor_b32_e32 v15, 0x7fffffff, v14
	v_sub_u32_e32 v17, 0, v14
	v_cmp_lt_u32_e64 s[10:11], v10, v14
	v_cndmask_b32_e64 v14, v17, v15, s[10:11]
	v_add_u32_e32 v10, v14, v10
	v_add_u32_e32 v14, -1, v16
	v_add_u32_e32 v15, 1, v16
	v_add_u32_e32 v17, -1, v10
	v_fma_f32 v18, -v14, v16, v13
	v_fma_f32 v19, -v15, v16, v13
	v_cvt_f32_u32_e32 v17, v17
	v_cmp_ge_f32_e64 s[10:11], 0, v18
	v_cvt_f32_u32_e32 v11, v11
	v_cndmask_b32_e64 v14, v16, v14, s[10:11]
	v_cmp_lt_f32_e64 s[10:11], 0, v19
	v_cndmask_b32_e64 v14, v14, v15, s[10:11]
	v_mul_f32_e32 v15, 0x37800000, v14
	v_cndmask_b32_e32 v14, v14, v15, vcc
	v_fma_f32 v15, v17, s17, 0
	v_cmp_class_f32_e32 vcc, v13, v1
	v_fma_f32 v11, v11, s17, 0
	v_cndmask_b32_e32 v13, v14, v13, vcc
	v_mul_f32_e32 v14, v15, v15
	v_add_f32_e32 v12, 1.0, v6
	v_cmp_nge_f32_e32 vcc, 1.0, v13
	v_fmac_f32_e32 v14, v11, v11
	v_cndmask_b32_e32 v6, v12, v6, vcc
	v_mul_f32_e32 v11, 0x4f800000, v14
	v_cmp_gt_f32_e32 vcc, s26, v14
	v_cndmask_b32_e32 v11, v14, v11, vcc
	v_sqrt_f32_e32 v13, v11
	s_add_i32 s14, s14, -2
	v_add_f32_e32 v12, 1.0, v6
	s_cmp_lg_u32 s14, 0
	v_add_u32_e32 v14, -1, v13
	v_add_u32_e32 v15, 1, v13
	v_fma_f32 v16, -v14, v13, v11
	v_fma_f32 v17, -v15, v13, v11
	v_cmp_ge_f32_e64 s[10:11], 0, v16
	v_cndmask_b32_e64 v13, v13, v14, s[10:11]
	v_cmp_lt_f32_e64 s[10:11], 0, v17
	v_cndmask_b32_e64 v13, v13, v15, s[10:11]
	v_mul_f32_e32 v14, 0x37800000, v13
	v_cndmask_b32_e32 v13, v13, v14, vcc
	v_cmp_class_f32_e32 vcc, v11, v1
	v_cndmask_b32_e32 v11, v13, v11, vcc
	v_cmp_nge_f32_e32 vcc, 1.0, v11
	v_cndmask_b32_e32 v6, v12, v6, vcc
	s_cbranch_scc1 .LBB20_41
; %bb.42:
	v_mul_f32_e32 v1, 4.0, v6
	s_mov_b32 s14, 0x461c4000
	v_div_scale_f32 v6, s[10:11], s14, s14, v1
	v_rcp_f32_e32 v10, v6
	v_fma_f32 v11, -v6, v10, 1.0
	v_fmac_f32_e32 v10, v11, v10
	v_div_scale_f32 v11, vcc, v1, s14, v1
	v_mul_f32_e32 v12, v11, v10
	v_fma_f32 v13, -v6, v12, v11
	v_fmac_f32_e32 v12, v13, v10
	v_fma_f32 v6, -v6, v12, v11
	v_div_fmas_f32 v6, v6, v10, v12
	v_div_fixup_f32 v6, v6, s14, v1
.LBB20_43:
	s_or_b64 exec, exec, s[12:13]
	v_or_b32_e32 v1, 0x280, v0
	v_cmp_gt_u32_e64 s[10:11], s30, v1
	s_and_saveexec_b64 s[14:15], s[10:11]
	s_cbranch_execz .LBB20_47
; %bb.44:
	v_add_u32_e32 v1, s28, v1
	v_lshlrev_b32_e32 v7, 12, v1
	s_mov_b32 s12, 0x7ed55d16
	v_add3_u32 v1, v1, v7, s12
	v_lshrrev_b32_e32 v7, 19, v1
	v_xor_b32_e32 v1, v1, v7
	v_xor_b32_e32 v1, 0xc761c23c, v1
	v_lshl_add_u32 v1, v1, 5, v1
	v_mov_b32_e32 v10, 0xaccf6200
	v_add_u32_e32 v7, 0xe9f8cc1d, v1
	v_lshl_add_u32 v1, v1, 9, v10
	v_xor_b32_e32 v1, v7, v1
	v_lshlrev_b32_e32 v7, 3, v1
	s_mov_b32 s12, 0xfd7046c5
	v_add3_u32 v1, v1, v7, s12
	v_xor_b32_sdwa v1, v1, v1 dst_sel:DWORD dst_unused:UNUSED_PAD src0_sel:DWORD src1_sel:WORD_1
	v_xor_b32_e32 v1, 0xb55a4f09, v1
	v_mul_hi_u32 v7, v1, 3
	v_sub_u32_e32 v10, v1, v7
	v_lshrrev_b32_e32 v10, 1, v10
	v_add_u32_e32 v7, v10, v7
	v_lshrrev_b32_e32 v7, 30, v7
	s_brev_b32 s12, -2
	v_mul_lo_u32 v7, v7, s12
	v_sub_u32_e32 v1, v1, v7
	v_max_u32_e32 v10, 1, v1
	s_movk_i32 s16, 0x2710
	v_mov_b32_e32 v7, 0
	s_mov_b32 s17, 0xbc8f1391
	s_mov_b32 s26, 0xbc8f
	s_brev_b32 s27, 12
	s_mov_b32 s31, 0xf800000
	v_mov_b32_e32 v1, 0x260
.LBB20_45:                              ; =>This Inner Loop Header: Depth=1
	v_mul_hi_u32 v11, v10, s17
	v_lshrrev_b32_e32 v11, 15, v11
	v_mul_u32_u24_e32 v13, 0xadc8, v11
	v_sub_u32_e32 v10, v10, v13
	v_mul_u32_u24_e32 v11, 0xd47, v11
	v_mul_lo_u32 v10, v10, s26
	v_xor_b32_e32 v13, 0x7fffffff, v11
	v_sub_u32_e32 v14, 0, v11
	v_cmp_lt_u32_e32 vcc, v10, v11
	v_cndmask_b32_e32 v11, v14, v13, vcc
	v_add_u32_e32 v10, v11, v10
	v_mul_hi_u32 v13, v10, s17
	v_lshrrev_b32_e32 v13, 15, v13
	v_mul_u32_u24_e32 v14, 0xadc8, v13
	v_add_u32_e32 v11, -1, v10
	v_sub_u32_e32 v10, v10, v14
	v_mul_u32_u24_e32 v13, 0xd47, v13
	v_mul_lo_u32 v10, v10, s26
	v_xor_b32_e32 v14, 0x7fffffff, v13
	v_sub_u32_e32 v15, 0, v13
	v_cmp_lt_u32_e32 vcc, v10, v13
	v_cndmask_b32_e32 v13, v15, v14, vcc
	v_add_u32_e32 v10, v13, v10
	v_mul_hi_u32 v14, v10, s17
	v_add_u32_e32 v13, -1, v10
	v_lshrrev_b32_e32 v14, 15, v14
	v_cvt_f32_u32_e32 v13, v13
	v_mul_u32_u24_e32 v15, 0xadc8, v14
	v_cvt_f32_u32_e32 v11, v11
	v_sub_u32_e32 v10, v10, v15
	v_mul_u32_u24_e32 v14, 0xd47, v14
	v_mul_lo_u32 v10, v10, s26
	v_xor_b32_e32 v15, 0x7fffffff, v14
	v_sub_u32_e32 v16, 0, v14
	v_cmp_lt_u32_e32 vcc, v10, v14
	v_fma_f32 v13, v13, s27, 0
	v_cndmask_b32_e32 v14, v16, v15, vcc
	v_fma_f32 v11, v11, s27, 0
	v_mul_f32_e32 v13, v13, v13
	v_add_u32_e32 v10, v14, v10
	v_fmac_f32_e32 v13, v11, v11
	v_mul_hi_u32 v14, v10, s17
	v_mul_f32_e32 v15, 0x4f800000, v13
	v_lshrrev_b32_e32 v14, 15, v14
	v_cmp_gt_f32_e32 vcc, s31, v13
	v_cndmask_b32_e32 v13, v13, v15, vcc
	v_mul_u32_u24_e32 v15, 0xadc8, v14
	v_add_u32_e32 v11, -1, v10
	v_sqrt_f32_e32 v16, v13
	v_sub_u32_e32 v10, v10, v15
	v_mul_u32_u24_e32 v14, 0xd47, v14
	v_mul_lo_u32 v10, v10, s26
	v_xor_b32_e32 v15, 0x7fffffff, v14
	v_sub_u32_e32 v17, 0, v14
	v_cmp_lt_u32_e64 s[12:13], v10, v14
	v_cndmask_b32_e64 v14, v17, v15, s[12:13]
	v_add_u32_e32 v10, v14, v10
	v_add_u32_e32 v14, -1, v16
	v_add_u32_e32 v15, 1, v16
	v_add_u32_e32 v17, -1, v10
	v_fma_f32 v18, -v14, v16, v13
	v_fma_f32 v19, -v15, v16, v13
	v_cvt_f32_u32_e32 v17, v17
	v_cmp_ge_f32_e64 s[12:13], 0, v18
	v_cvt_f32_u32_e32 v11, v11
	v_cndmask_b32_e64 v14, v16, v14, s[12:13]
	v_cmp_lt_f32_e64 s[12:13], 0, v19
	v_cndmask_b32_e64 v14, v14, v15, s[12:13]
	v_mul_f32_e32 v15, 0x37800000, v14
	v_cndmask_b32_e32 v14, v14, v15, vcc
	v_fma_f32 v15, v17, s27, 0
	v_cmp_class_f32_e32 vcc, v13, v1
	v_fma_f32 v11, v11, s27, 0
	v_cndmask_b32_e32 v13, v14, v13, vcc
	v_mul_f32_e32 v14, v15, v15
	v_add_f32_e32 v12, 1.0, v7
	v_cmp_nge_f32_e32 vcc, 1.0, v13
	v_fmac_f32_e32 v14, v11, v11
	v_cndmask_b32_e32 v7, v12, v7, vcc
	v_mul_f32_e32 v11, 0x4f800000, v14
	v_cmp_gt_f32_e32 vcc, s31, v14
	v_cndmask_b32_e32 v11, v14, v11, vcc
	v_sqrt_f32_e32 v13, v11
	s_add_i32 s16, s16, -2
	v_add_f32_e32 v12, 1.0, v7
	s_cmp_lg_u32 s16, 0
	v_add_u32_e32 v14, -1, v13
	v_add_u32_e32 v15, 1, v13
	v_fma_f32 v16, -v14, v13, v11
	v_fma_f32 v17, -v15, v13, v11
	v_cmp_ge_f32_e64 s[12:13], 0, v16
	v_cndmask_b32_e64 v13, v13, v14, s[12:13]
	v_cmp_lt_f32_e64 s[12:13], 0, v17
	v_cndmask_b32_e64 v13, v13, v15, s[12:13]
	v_mul_f32_e32 v14, 0x37800000, v13
	v_cndmask_b32_e32 v13, v13, v14, vcc
	v_cmp_class_f32_e32 vcc, v11, v1
	v_cndmask_b32_e32 v11, v13, v11, vcc
	v_cmp_nge_f32_e32 vcc, 1.0, v11
	v_cndmask_b32_e32 v7, v12, v7, vcc
	s_cbranch_scc1 .LBB20_45
; %bb.46:
	v_mul_f32_e32 v1, 4.0, v7
	s_mov_b32 s16, 0x461c4000
	v_div_scale_f32 v7, s[12:13], s16, s16, v1
	v_rcp_f32_e32 v10, v7
	v_fma_f32 v11, -v7, v10, 1.0
	v_fmac_f32_e32 v10, v11, v10
	v_div_scale_f32 v11, vcc, v1, s16, v1
	v_mul_f32_e32 v12, v11, v10
	v_fma_f32 v13, -v7, v12, v11
	v_fmac_f32_e32 v12, v13, v10
	v_fma_f32 v7, -v7, v12, v11
	v_div_fmas_f32 v7, v7, v10, v12
	v_div_fixup_f32 v7, v7, s16, v1
.LBB20_47:
	s_or_b64 exec, exec, s[14:15]
	v_or_b32_e32 v1, 0x300, v0
	v_cmp_gt_u32_e64 s[12:13], s30, v1
	s_and_saveexec_b64 s[16:17], s[12:13]
	s_cbranch_execz .LBB20_51
; %bb.48:
	v_add_u32_e32 v1, s28, v1
	v_lshlrev_b32_e32 v8, 12, v1
	s_mov_b32 s14, 0x7ed55d16
	v_add3_u32 v1, v1, v8, s14
	v_lshrrev_b32_e32 v8, 19, v1
	v_xor_b32_e32 v1, v1, v8
	v_xor_b32_e32 v1, 0xc761c23c, v1
	v_lshl_add_u32 v1, v1, 5, v1
	v_mov_b32_e32 v10, 0xaccf6200
	v_add_u32_e32 v8, 0xe9f8cc1d, v1
	v_lshl_add_u32 v1, v1, 9, v10
	v_xor_b32_e32 v1, v8, v1
	v_lshlrev_b32_e32 v8, 3, v1
	s_mov_b32 s14, 0xfd7046c5
	v_add3_u32 v1, v1, v8, s14
	v_xor_b32_sdwa v1, v1, v1 dst_sel:DWORD dst_unused:UNUSED_PAD src0_sel:DWORD src1_sel:WORD_1
	v_xor_b32_e32 v1, 0xb55a4f09, v1
	v_mul_hi_u32 v8, v1, 3
	v_sub_u32_e32 v10, v1, v8
	v_lshrrev_b32_e32 v10, 1, v10
	v_add_u32_e32 v8, v10, v8
	v_lshrrev_b32_e32 v8, 30, v8
	s_brev_b32 s14, -2
	v_mul_lo_u32 v8, v8, s14
	v_sub_u32_e32 v1, v1, v8
	v_max_u32_e32 v10, 1, v1
	s_movk_i32 s26, 0x2710
	v_mov_b32_e32 v8, 0
	s_mov_b32 s27, 0xbc8f1391
	s_mov_b32 s31, 0xbc8f
	s_brev_b32 s33, 12
	s_mov_b32 s34, 0xf800000
	v_mov_b32_e32 v1, 0x260
.LBB20_49:                              ; =>This Inner Loop Header: Depth=1
	v_mul_hi_u32 v11, v10, s27
	v_lshrrev_b32_e32 v11, 15, v11
	v_mul_u32_u24_e32 v13, 0xadc8, v11
	v_sub_u32_e32 v10, v10, v13
	v_mul_u32_u24_e32 v11, 0xd47, v11
	v_mul_lo_u32 v10, v10, s31
	v_xor_b32_e32 v13, 0x7fffffff, v11
	v_sub_u32_e32 v14, 0, v11
	v_cmp_lt_u32_e32 vcc, v10, v11
	v_cndmask_b32_e32 v11, v14, v13, vcc
	v_add_u32_e32 v10, v11, v10
	v_mul_hi_u32 v13, v10, s27
	v_lshrrev_b32_e32 v13, 15, v13
	v_mul_u32_u24_e32 v14, 0xadc8, v13
	v_add_u32_e32 v11, -1, v10
	v_sub_u32_e32 v10, v10, v14
	v_mul_u32_u24_e32 v13, 0xd47, v13
	v_mul_lo_u32 v10, v10, s31
	v_xor_b32_e32 v14, 0x7fffffff, v13
	v_sub_u32_e32 v15, 0, v13
	v_cmp_lt_u32_e32 vcc, v10, v13
	v_cndmask_b32_e32 v13, v15, v14, vcc
	v_add_u32_e32 v10, v13, v10
	v_mul_hi_u32 v14, v10, s27
	v_add_u32_e32 v13, -1, v10
	v_lshrrev_b32_e32 v14, 15, v14
	v_cvt_f32_u32_e32 v13, v13
	v_mul_u32_u24_e32 v15, 0xadc8, v14
	v_cvt_f32_u32_e32 v11, v11
	v_sub_u32_e32 v10, v10, v15
	v_mul_u32_u24_e32 v14, 0xd47, v14
	v_mul_lo_u32 v10, v10, s31
	v_xor_b32_e32 v15, 0x7fffffff, v14
	v_sub_u32_e32 v16, 0, v14
	v_cmp_lt_u32_e32 vcc, v10, v14
	v_fma_f32 v13, v13, s33, 0
	v_cndmask_b32_e32 v14, v16, v15, vcc
	v_fma_f32 v11, v11, s33, 0
	v_mul_f32_e32 v13, v13, v13
	v_add_u32_e32 v10, v14, v10
	v_fmac_f32_e32 v13, v11, v11
	v_mul_hi_u32 v14, v10, s27
	v_mul_f32_e32 v15, 0x4f800000, v13
	v_lshrrev_b32_e32 v14, 15, v14
	v_cmp_gt_f32_e32 vcc, s34, v13
	v_cndmask_b32_e32 v13, v13, v15, vcc
	v_mul_u32_u24_e32 v15, 0xadc8, v14
	v_add_u32_e32 v11, -1, v10
	v_sqrt_f32_e32 v16, v13
	v_sub_u32_e32 v10, v10, v15
	v_mul_u32_u24_e32 v14, 0xd47, v14
	v_mul_lo_u32 v10, v10, s31
	v_xor_b32_e32 v15, 0x7fffffff, v14
	v_sub_u32_e32 v17, 0, v14
	v_cmp_lt_u32_e64 s[14:15], v10, v14
	v_cndmask_b32_e64 v14, v17, v15, s[14:15]
	v_add_u32_e32 v10, v14, v10
	v_add_u32_e32 v14, -1, v16
	v_add_u32_e32 v15, 1, v16
	v_add_u32_e32 v17, -1, v10
	v_fma_f32 v18, -v14, v16, v13
	v_fma_f32 v19, -v15, v16, v13
	v_cvt_f32_u32_e32 v17, v17
	v_cmp_ge_f32_e64 s[14:15], 0, v18
	v_cvt_f32_u32_e32 v11, v11
	v_cndmask_b32_e64 v14, v16, v14, s[14:15]
	v_cmp_lt_f32_e64 s[14:15], 0, v19
	v_cndmask_b32_e64 v14, v14, v15, s[14:15]
	v_mul_f32_e32 v15, 0x37800000, v14
	v_cndmask_b32_e32 v14, v14, v15, vcc
	v_fma_f32 v15, v17, s33, 0
	v_cmp_class_f32_e32 vcc, v13, v1
	v_fma_f32 v11, v11, s33, 0
	v_cndmask_b32_e32 v13, v14, v13, vcc
	v_mul_f32_e32 v14, v15, v15
	v_add_f32_e32 v12, 1.0, v8
	v_cmp_nge_f32_e32 vcc, 1.0, v13
	v_fmac_f32_e32 v14, v11, v11
	v_cndmask_b32_e32 v8, v12, v8, vcc
	v_mul_f32_e32 v11, 0x4f800000, v14
	v_cmp_gt_f32_e32 vcc, s34, v14
	v_cndmask_b32_e32 v11, v14, v11, vcc
	v_sqrt_f32_e32 v13, v11
	s_add_i32 s26, s26, -2
	v_add_f32_e32 v12, 1.0, v8
	s_cmp_lg_u32 s26, 0
	v_add_u32_e32 v14, -1, v13
	v_add_u32_e32 v15, 1, v13
	v_fma_f32 v16, -v14, v13, v11
	v_fma_f32 v17, -v15, v13, v11
	v_cmp_ge_f32_e64 s[14:15], 0, v16
	v_cndmask_b32_e64 v13, v13, v14, s[14:15]
	v_cmp_lt_f32_e64 s[14:15], 0, v17
	v_cndmask_b32_e64 v13, v13, v15, s[14:15]
	v_mul_f32_e32 v14, 0x37800000, v13
	v_cndmask_b32_e32 v13, v13, v14, vcc
	v_cmp_class_f32_e32 vcc, v11, v1
	v_cndmask_b32_e32 v11, v13, v11, vcc
	v_cmp_nge_f32_e32 vcc, 1.0, v11
	v_cndmask_b32_e32 v8, v12, v8, vcc
	s_cbranch_scc1 .LBB20_49
; %bb.50:
	v_mul_f32_e32 v1, 4.0, v8
	s_mov_b32 s26, 0x461c4000
	v_div_scale_f32 v8, s[14:15], s26, s26, v1
	v_rcp_f32_e32 v10, v8
	v_fma_f32 v11, -v8, v10, 1.0
	v_fmac_f32_e32 v10, v11, v10
	v_div_scale_f32 v11, vcc, v1, s26, v1
	v_mul_f32_e32 v12, v11, v10
	v_fma_f32 v13, -v8, v12, v11
	v_fmac_f32_e32 v12, v13, v10
	v_fma_f32 v8, -v8, v12, v11
	v_div_fmas_f32 v8, v8, v10, v12
	v_div_fixup_f32 v8, v8, s26, v1
.LBB20_51:
	s_or_b64 exec, exec, s[16:17]
	v_or_b32_e32 v1, 0x380, v0
	v_cmp_gt_u32_e64 s[14:15], s30, v1
	s_and_saveexec_b64 s[26:27], s[14:15]
	s_cbranch_execz .LBB20_55
; %bb.52:
	v_add_u32_e32 v1, s28, v1
	v_lshlrev_b32_e32 v9, 12, v1
	s_mov_b32 s16, 0x7ed55d16
	v_add3_u32 v1, v1, v9, s16
	v_lshrrev_b32_e32 v9, 19, v1
	v_xor_b32_e32 v1, v1, v9
	v_xor_b32_e32 v1, 0xc761c23c, v1
	v_lshl_add_u32 v1, v1, 5, v1
	v_mov_b32_e32 v10, 0xaccf6200
	v_add_u32_e32 v9, 0xe9f8cc1d, v1
	v_lshl_add_u32 v1, v1, 9, v10
	v_xor_b32_e32 v1, v9, v1
	v_lshlrev_b32_e32 v9, 3, v1
	s_mov_b32 s16, 0xfd7046c5
	v_add3_u32 v1, v1, v9, s16
	v_xor_b32_sdwa v1, v1, v1 dst_sel:DWORD dst_unused:UNUSED_PAD src0_sel:DWORD src1_sel:WORD_1
	v_xor_b32_e32 v1, 0xb55a4f09, v1
	v_mul_hi_u32 v9, v1, 3
	v_sub_u32_e32 v10, v1, v9
	v_lshrrev_b32_e32 v10, 1, v10
	v_add_u32_e32 v9, v10, v9
	v_lshrrev_b32_e32 v9, 30, v9
	s_brev_b32 s16, -2
	v_mul_lo_u32 v9, v9, s16
	v_sub_u32_e32 v1, v1, v9
	v_max_u32_e32 v10, 1, v1
	s_movk_i32 s28, 0x2710
	v_mov_b32_e32 v9, 0
	s_mov_b32 s31, 0xbc8f1391
	s_mov_b32 s33, 0xbc8f
	s_brev_b32 s34, 12
	s_mov_b32 s35, 0xf800000
	v_mov_b32_e32 v1, 0x260
.LBB20_53:                              ; =>This Inner Loop Header: Depth=1
	v_mul_hi_u32 v11, v10, s31
	v_lshrrev_b32_e32 v11, 15, v11
	v_mul_u32_u24_e32 v13, 0xadc8, v11
	v_sub_u32_e32 v10, v10, v13
	v_mul_u32_u24_e32 v11, 0xd47, v11
	v_mul_lo_u32 v10, v10, s33
	v_xor_b32_e32 v13, 0x7fffffff, v11
	v_sub_u32_e32 v14, 0, v11
	v_cmp_lt_u32_e32 vcc, v10, v11
	v_cndmask_b32_e32 v11, v14, v13, vcc
	v_add_u32_e32 v10, v11, v10
	v_mul_hi_u32 v13, v10, s31
	v_lshrrev_b32_e32 v13, 15, v13
	v_mul_u32_u24_e32 v14, 0xadc8, v13
	v_add_u32_e32 v11, -1, v10
	v_sub_u32_e32 v10, v10, v14
	v_mul_u32_u24_e32 v13, 0xd47, v13
	v_mul_lo_u32 v10, v10, s33
	v_xor_b32_e32 v14, 0x7fffffff, v13
	v_sub_u32_e32 v15, 0, v13
	v_cmp_lt_u32_e32 vcc, v10, v13
	v_cndmask_b32_e32 v13, v15, v14, vcc
	v_add_u32_e32 v10, v13, v10
	v_mul_hi_u32 v14, v10, s31
	v_add_u32_e32 v13, -1, v10
	v_lshrrev_b32_e32 v14, 15, v14
	v_cvt_f32_u32_e32 v13, v13
	v_mul_u32_u24_e32 v15, 0xadc8, v14
	v_cvt_f32_u32_e32 v11, v11
	v_sub_u32_e32 v10, v10, v15
	v_mul_u32_u24_e32 v14, 0xd47, v14
	v_mul_lo_u32 v10, v10, s33
	v_xor_b32_e32 v15, 0x7fffffff, v14
	v_sub_u32_e32 v16, 0, v14
	v_cmp_lt_u32_e32 vcc, v10, v14
	v_fma_f32 v13, v13, s34, 0
	v_cndmask_b32_e32 v14, v16, v15, vcc
	v_fma_f32 v11, v11, s34, 0
	v_mul_f32_e32 v13, v13, v13
	v_add_u32_e32 v10, v14, v10
	v_fmac_f32_e32 v13, v11, v11
	v_mul_hi_u32 v14, v10, s31
	v_mul_f32_e32 v15, 0x4f800000, v13
	v_lshrrev_b32_e32 v14, 15, v14
	v_cmp_gt_f32_e32 vcc, s35, v13
	v_cndmask_b32_e32 v13, v13, v15, vcc
	v_mul_u32_u24_e32 v15, 0xadc8, v14
	v_add_u32_e32 v11, -1, v10
	v_sqrt_f32_e32 v16, v13
	v_sub_u32_e32 v10, v10, v15
	v_mul_u32_u24_e32 v14, 0xd47, v14
	v_mul_lo_u32 v10, v10, s33
	v_xor_b32_e32 v15, 0x7fffffff, v14
	v_sub_u32_e32 v17, 0, v14
	v_cmp_lt_u32_e64 s[16:17], v10, v14
	v_cndmask_b32_e64 v14, v17, v15, s[16:17]
	v_add_u32_e32 v10, v14, v10
	v_add_u32_e32 v14, -1, v16
	v_add_u32_e32 v15, 1, v16
	v_add_u32_e32 v17, -1, v10
	v_fma_f32 v18, -v14, v16, v13
	v_fma_f32 v19, -v15, v16, v13
	v_cvt_f32_u32_e32 v17, v17
	v_cmp_ge_f32_e64 s[16:17], 0, v18
	v_cvt_f32_u32_e32 v11, v11
	v_cndmask_b32_e64 v14, v16, v14, s[16:17]
	v_cmp_lt_f32_e64 s[16:17], 0, v19
	v_cndmask_b32_e64 v14, v14, v15, s[16:17]
	v_mul_f32_e32 v15, 0x37800000, v14
	v_cndmask_b32_e32 v14, v14, v15, vcc
	v_fma_f32 v15, v17, s34, 0
	v_cmp_class_f32_e32 vcc, v13, v1
	v_fma_f32 v11, v11, s34, 0
	v_cndmask_b32_e32 v13, v14, v13, vcc
	v_mul_f32_e32 v14, v15, v15
	v_add_f32_e32 v12, 1.0, v9
	v_cmp_nge_f32_e32 vcc, 1.0, v13
	v_fmac_f32_e32 v14, v11, v11
	v_cndmask_b32_e32 v9, v12, v9, vcc
	v_mul_f32_e32 v11, 0x4f800000, v14
	v_cmp_gt_f32_e32 vcc, s35, v14
	v_cndmask_b32_e32 v11, v14, v11, vcc
	v_sqrt_f32_e32 v13, v11
	s_add_i32 s28, s28, -2
	v_add_f32_e32 v12, 1.0, v9
	s_cmp_lg_u32 s28, 0
	v_add_u32_e32 v14, -1, v13
	v_add_u32_e32 v15, 1, v13
	v_fma_f32 v16, -v14, v13, v11
	v_fma_f32 v17, -v15, v13, v11
	v_cmp_ge_f32_e64 s[16:17], 0, v16
	v_cndmask_b32_e64 v13, v13, v14, s[16:17]
	v_cmp_lt_f32_e64 s[16:17], 0, v17
	v_cndmask_b32_e64 v13, v13, v15, s[16:17]
	v_mul_f32_e32 v14, 0x37800000, v13
	v_cndmask_b32_e32 v13, v13, v14, vcc
	v_cmp_class_f32_e32 vcc, v11, v1
	v_cndmask_b32_e32 v11, v13, v11, vcc
	v_cmp_nge_f32_e32 vcc, 1.0, v11
	v_cndmask_b32_e32 v9, v12, v9, vcc
	s_cbranch_scc1 .LBB20_53
; %bb.54:
	v_mul_f32_e32 v1, 4.0, v9
	s_mov_b32 s28, 0x461c4000
	v_div_scale_f32 v9, s[16:17], s28, s28, v1
	v_rcp_f32_e32 v10, v9
	v_fma_f32 v11, -v9, v10, 1.0
	v_fmac_f32_e32 v10, v11, v10
	v_div_scale_f32 v11, vcc, v1, s28, v1
	v_mul_f32_e32 v12, v11, v10
	v_fma_f32 v13, -v9, v12, v11
	v_fmac_f32_e32 v12, v13, v10
	v_fma_f32 v9, -v9, v12, v11
	v_div_fmas_f32 v9, v9, v10, v12
	v_div_fixup_f32 v9, v9, s28, v1
.LBB20_55:
	s_or_b64 exec, exec, s[26:27]
	v_add_f32_e32 v1, v2, v3
	v_cndmask_b32_e64 v1, v2, v1, s[0:1]
	v_add_f32_e32 v2, v4, v1
	v_cndmask_b32_e64 v1, v1, v2, s[2:3]
	;; [unrolled: 2-line block ×7, first 2 shown]
	v_mbcnt_lo_u32_b32 v1, -1, 0
	v_mbcnt_hi_u32_b32 v1, -1, v1
	v_and_b32_e32 v3, 63, v1
	v_cmp_ne_u32_e32 vcc, 63, v3
	v_addc_co_u32_e32 v4, vcc, 0, v1, vcc
	v_lshlrev_b32_e32 v4, 2, v4
	ds_bpermute_b32 v4, v4, v2
	s_min_u32 s2, s30, 0x80
	v_and_b32_e32 v5, 64, v0
	v_sub_u32_e64 v5, s2, v5 clamp
	v_add_u32_e32 v6, 1, v3
	v_cmp_gt_u32_e64 s[0:1], 62, v3
	v_cmp_lt_u32_e32 vcc, v6, v5
	v_cndmask_b32_e64 v6, 0, 1, s[0:1]
	s_waitcnt lgkmcnt(0)
	v_add_f32_e32 v4, v2, v4
	v_lshlrev_b32_e32 v6, 1, v6
	v_cndmask_b32_e32 v4, v2, v4, vcc
	v_add_lshl_u32 v6, v6, v1, 2
	ds_bpermute_b32 v6, v6, v4
	v_add_u32_e32 v7, 2, v3
	v_cmp_lt_u32_e64 s[0:1], v7, v5
	v_add_u32_e32 v7, 4, v3
	s_waitcnt lgkmcnt(0)
	v_add_f32_e32 v6, v4, v6
	v_cndmask_b32_e64 v4, v4, v6, s[0:1]
	v_cmp_gt_u32_e64 s[0:1], 60, v3
	v_cndmask_b32_e64 v6, 0, 1, s[0:1]
	v_lshlrev_b32_e32 v6, 2, v6
	v_add_lshl_u32 v6, v6, v1, 2
	ds_bpermute_b32 v6, v6, v4
	v_cmp_lt_u32_e64 s[0:1], v7, v5
	v_add_u32_e32 v7, 8, v3
	s_waitcnt lgkmcnt(0)
	v_add_f32_e32 v6, v4, v6
	v_cndmask_b32_e64 v4, v4, v6, s[0:1]
	v_cmp_gt_u32_e64 s[0:1], 56, v3
	v_cndmask_b32_e64 v6, 0, 1, s[0:1]
	v_lshlrev_b32_e32 v6, 3, v6
	v_add_lshl_u32 v6, v6, v1, 2
	ds_bpermute_b32 v6, v6, v4
	;; [unrolled: 10-line block ×3, first 2 shown]
	v_cmp_lt_u32_e64 s[0:1], v7, v5
	s_waitcnt lgkmcnt(0)
	v_add_f32_e32 v6, v4, v6
	v_cndmask_b32_e64 v4, v4, v6, s[0:1]
	v_cmp_gt_u32_e64 s[0:1], 32, v3
	v_cndmask_b32_e64 v6, 0, 1, s[0:1]
	v_lshlrev_b32_e32 v6, 5, v6
	v_add_lshl_u32 v6, v6, v1, 2
	ds_bpermute_b32 v6, v6, v4
	v_add_u32_e32 v3, 32, v3
	v_cmp_lt_u32_e64 s[0:1], v3, v5
	s_waitcnt lgkmcnt(0)
	v_add_f32_e32 v6, v4, v6
	v_cndmask_b32_e64 v3, v4, v6, s[0:1]
	v_cndmask_b32_e32 v2, v2, v3, vcc
	v_cmp_eq_u32_e32 vcc, 0, v1
	s_and_saveexec_b64 s[0:1], vcc
	s_cbranch_execz .LBB20_57
; %bb.56:
	v_lshrrev_b32_e32 v3, 4, v0
	v_and_b32_e32 v3, 4, v3
	ds_write_b32 v3, v2 offset:8
.LBB20_57:
	s_or_b64 exec, exec, s[0:1]
	v_cmp_gt_u32_e32 vcc, 2, v0
	s_waitcnt lgkmcnt(0)
	s_barrier
	s_and_saveexec_b64 s[0:1], vcc
	s_cbranch_execz .LBB20_59
; %bb.58:
	v_lshlrev_b32_e32 v2, 2, v1
	ds_read_b32 v3, v2 offset:8
	v_or_b32_e32 v2, 4, v2
	s_add_i32 s2, s2, 63
	v_and_b32_e32 v1, 1, v1
	s_lshr_b32 s2, s2, 6
	s_waitcnt lgkmcnt(0)
	ds_bpermute_b32 v2, v2, v3
	v_add_u32_e32 v1, 1, v1
	v_cmp_gt_u32_e32 vcc, s2, v1
	s_waitcnt lgkmcnt(0)
	v_add_f32_e32 v2, v3, v2
	v_cndmask_b32_e32 v2, v3, v2, vcc
.LBB20_59:
	s_or_b64 exec, exec, s[0:1]
.LBB20_60:
	v_cmp_eq_u32_e32 vcc, 0, v0
	s_and_saveexec_b64 s[0:1], vcc
	s_cbranch_execnz .LBB20_62
; %bb.61:
	s_endpgm
.LBB20_62:
	s_mul_i32 s0, s24, s23
	s_mul_hi_u32 s1, s24, s22
	s_add_i32 s0, s1, s0
	s_mul_i32 s1, s25, s22
	s_add_i32 s1, s0, s1
	s_mul_i32 s0, s24, s22
	s_lshl_b64 s[0:1], s[0:1], 2
	s_add_u32 s2, s20, s0
	s_addc_u32 s3, s21, s1
	s_cmp_eq_u64 s[18:19], 0
	s_cselect_b64 vcc, -1, 0
	s_lshl_b64 s[0:1], s[6:7], 2
	s_waitcnt lgkmcnt(0)
	v_mov_b32_e32 v0, s29
	s_add_u32 s0, s2, s0
	v_cndmask_b32_e32 v0, v2, v0, vcc
	s_addc_u32 s1, s3, s1
	v_mov_b32_e32 v1, 0
	global_store_dword v1, v0, s[0:1]
	s_endpgm
	.section	.rodata,"a",@progbits
	.p2align	6, 0x0
	.amdhsa_kernel _ZN7rocprim17ROCPRIM_400000_NS6detail17trampoline_kernelINS0_14default_configENS1_22reduce_config_selectorIfEEZNS1_11reduce_implILb1ES3_N6thrust23THRUST_200600_302600_NS11hip_rocprim26transform_input_iterator_tIfNS8_17counting_iteratorIiNS8_11use_defaultESC_SC_EE11estimate_piEEPffNS8_4plusIfEEEE10hipError_tPvRmT1_T2_T3_mT4_P12ihipStream_tbEUlT_E0_NS1_11comp_targetILNS1_3genE4ELNS1_11target_archE910ELNS1_3gpuE8ELNS1_3repE0EEENS1_30default_config_static_selectorELNS0_4arch9wavefront6targetE1EEEvSM_
		.amdhsa_group_segment_fixed_size 16
		.amdhsa_private_segment_fixed_size 0
		.amdhsa_kernarg_size 56
		.amdhsa_user_sgpr_count 6
		.amdhsa_user_sgpr_private_segment_buffer 1
		.amdhsa_user_sgpr_dispatch_ptr 0
		.amdhsa_user_sgpr_queue_ptr 0
		.amdhsa_user_sgpr_kernarg_segment_ptr 1
		.amdhsa_user_sgpr_dispatch_id 0
		.amdhsa_user_sgpr_flat_scratch_init 0
		.amdhsa_user_sgpr_kernarg_preload_length 0
		.amdhsa_user_sgpr_kernarg_preload_offset 0
		.amdhsa_user_sgpr_private_segment_size 0
		.amdhsa_uses_dynamic_stack 0
		.amdhsa_system_sgpr_private_segment_wavefront_offset 0
		.amdhsa_system_sgpr_workgroup_id_x 1
		.amdhsa_system_sgpr_workgroup_id_y 0
		.amdhsa_system_sgpr_workgroup_id_z 0
		.amdhsa_system_sgpr_workgroup_info 0
		.amdhsa_system_vgpr_workitem_id 0
		.amdhsa_next_free_vgpr 20
		.amdhsa_next_free_sgpr 36
		.amdhsa_accum_offset 20
		.amdhsa_reserve_vcc 1
		.amdhsa_reserve_flat_scratch 0
		.amdhsa_float_round_mode_32 0
		.amdhsa_float_round_mode_16_64 0
		.amdhsa_float_denorm_mode_32 3
		.amdhsa_float_denorm_mode_16_64 3
		.amdhsa_dx10_clamp 1
		.amdhsa_ieee_mode 1
		.amdhsa_fp16_overflow 0
		.amdhsa_tg_split 0
		.amdhsa_exception_fp_ieee_invalid_op 0
		.amdhsa_exception_fp_denorm_src 0
		.amdhsa_exception_fp_ieee_div_zero 0
		.amdhsa_exception_fp_ieee_overflow 0
		.amdhsa_exception_fp_ieee_underflow 0
		.amdhsa_exception_fp_ieee_inexact 0
		.amdhsa_exception_int_div_zero 0
	.end_amdhsa_kernel
	.section	.text._ZN7rocprim17ROCPRIM_400000_NS6detail17trampoline_kernelINS0_14default_configENS1_22reduce_config_selectorIfEEZNS1_11reduce_implILb1ES3_N6thrust23THRUST_200600_302600_NS11hip_rocprim26transform_input_iterator_tIfNS8_17counting_iteratorIiNS8_11use_defaultESC_SC_EE11estimate_piEEPffNS8_4plusIfEEEE10hipError_tPvRmT1_T2_T3_mT4_P12ihipStream_tbEUlT_E0_NS1_11comp_targetILNS1_3genE4ELNS1_11target_archE910ELNS1_3gpuE8ELNS1_3repE0EEENS1_30default_config_static_selectorELNS0_4arch9wavefront6targetE1EEEvSM_,"axG",@progbits,_ZN7rocprim17ROCPRIM_400000_NS6detail17trampoline_kernelINS0_14default_configENS1_22reduce_config_selectorIfEEZNS1_11reduce_implILb1ES3_N6thrust23THRUST_200600_302600_NS11hip_rocprim26transform_input_iterator_tIfNS8_17counting_iteratorIiNS8_11use_defaultESC_SC_EE11estimate_piEEPffNS8_4plusIfEEEE10hipError_tPvRmT1_T2_T3_mT4_P12ihipStream_tbEUlT_E0_NS1_11comp_targetILNS1_3genE4ELNS1_11target_archE910ELNS1_3gpuE8ELNS1_3repE0EEENS1_30default_config_static_selectorELNS0_4arch9wavefront6targetE1EEEvSM_,comdat
.Lfunc_end20:
	.size	_ZN7rocprim17ROCPRIM_400000_NS6detail17trampoline_kernelINS0_14default_configENS1_22reduce_config_selectorIfEEZNS1_11reduce_implILb1ES3_N6thrust23THRUST_200600_302600_NS11hip_rocprim26transform_input_iterator_tIfNS8_17counting_iteratorIiNS8_11use_defaultESC_SC_EE11estimate_piEEPffNS8_4plusIfEEEE10hipError_tPvRmT1_T2_T3_mT4_P12ihipStream_tbEUlT_E0_NS1_11comp_targetILNS1_3genE4ELNS1_11target_archE910ELNS1_3gpuE8ELNS1_3repE0EEENS1_30default_config_static_selectorELNS0_4arch9wavefront6targetE1EEEvSM_, .Lfunc_end20-_ZN7rocprim17ROCPRIM_400000_NS6detail17trampoline_kernelINS0_14default_configENS1_22reduce_config_selectorIfEEZNS1_11reduce_implILb1ES3_N6thrust23THRUST_200600_302600_NS11hip_rocprim26transform_input_iterator_tIfNS8_17counting_iteratorIiNS8_11use_defaultESC_SC_EE11estimate_piEEPffNS8_4plusIfEEEE10hipError_tPvRmT1_T2_T3_mT4_P12ihipStream_tbEUlT_E0_NS1_11comp_targetILNS1_3genE4ELNS1_11target_archE910ELNS1_3gpuE8ELNS1_3repE0EEENS1_30default_config_static_selectorELNS0_4arch9wavefront6targetE1EEEvSM_
                                        ; -- End function
	.section	.AMDGPU.csdata,"",@progbits
; Kernel info:
; codeLenInByte = 14764
; NumSgprs: 40
; NumVgprs: 20
; NumAgprs: 0
; TotalNumVgprs: 20
; ScratchSize: 0
; MemoryBound: 0
; FloatMode: 240
; IeeeMode: 1
; LDSByteSize: 16 bytes/workgroup (compile time only)
; SGPRBlocks: 4
; VGPRBlocks: 2
; NumSGPRsForWavesPerEU: 40
; NumVGPRsForWavesPerEU: 20
; AccumOffset: 20
; Occupancy: 8
; WaveLimiterHint : 0
; COMPUTE_PGM_RSRC2:SCRATCH_EN: 0
; COMPUTE_PGM_RSRC2:USER_SGPR: 6
; COMPUTE_PGM_RSRC2:TRAP_HANDLER: 0
; COMPUTE_PGM_RSRC2:TGID_X_EN: 1
; COMPUTE_PGM_RSRC2:TGID_Y_EN: 0
; COMPUTE_PGM_RSRC2:TGID_Z_EN: 0
; COMPUTE_PGM_RSRC2:TIDIG_COMP_CNT: 0
; COMPUTE_PGM_RSRC3_GFX90A:ACCUM_OFFSET: 4
; COMPUTE_PGM_RSRC3_GFX90A:TG_SPLIT: 0
	.section	.text._ZN7rocprim17ROCPRIM_400000_NS6detail17trampoline_kernelINS0_14default_configENS1_22reduce_config_selectorIfEEZNS1_11reduce_implILb1ES3_N6thrust23THRUST_200600_302600_NS11hip_rocprim26transform_input_iterator_tIfNS8_17counting_iteratorIiNS8_11use_defaultESC_SC_EE11estimate_piEEPffNS8_4plusIfEEEE10hipError_tPvRmT1_T2_T3_mT4_P12ihipStream_tbEUlT_E0_NS1_11comp_targetILNS1_3genE3ELNS1_11target_archE908ELNS1_3gpuE7ELNS1_3repE0EEENS1_30default_config_static_selectorELNS0_4arch9wavefront6targetE1EEEvSM_,"axG",@progbits,_ZN7rocprim17ROCPRIM_400000_NS6detail17trampoline_kernelINS0_14default_configENS1_22reduce_config_selectorIfEEZNS1_11reduce_implILb1ES3_N6thrust23THRUST_200600_302600_NS11hip_rocprim26transform_input_iterator_tIfNS8_17counting_iteratorIiNS8_11use_defaultESC_SC_EE11estimate_piEEPffNS8_4plusIfEEEE10hipError_tPvRmT1_T2_T3_mT4_P12ihipStream_tbEUlT_E0_NS1_11comp_targetILNS1_3genE3ELNS1_11target_archE908ELNS1_3gpuE7ELNS1_3repE0EEENS1_30default_config_static_selectorELNS0_4arch9wavefront6targetE1EEEvSM_,comdat
	.protected	_ZN7rocprim17ROCPRIM_400000_NS6detail17trampoline_kernelINS0_14default_configENS1_22reduce_config_selectorIfEEZNS1_11reduce_implILb1ES3_N6thrust23THRUST_200600_302600_NS11hip_rocprim26transform_input_iterator_tIfNS8_17counting_iteratorIiNS8_11use_defaultESC_SC_EE11estimate_piEEPffNS8_4plusIfEEEE10hipError_tPvRmT1_T2_T3_mT4_P12ihipStream_tbEUlT_E0_NS1_11comp_targetILNS1_3genE3ELNS1_11target_archE908ELNS1_3gpuE7ELNS1_3repE0EEENS1_30default_config_static_selectorELNS0_4arch9wavefront6targetE1EEEvSM_ ; -- Begin function _ZN7rocprim17ROCPRIM_400000_NS6detail17trampoline_kernelINS0_14default_configENS1_22reduce_config_selectorIfEEZNS1_11reduce_implILb1ES3_N6thrust23THRUST_200600_302600_NS11hip_rocprim26transform_input_iterator_tIfNS8_17counting_iteratorIiNS8_11use_defaultESC_SC_EE11estimate_piEEPffNS8_4plusIfEEEE10hipError_tPvRmT1_T2_T3_mT4_P12ihipStream_tbEUlT_E0_NS1_11comp_targetILNS1_3genE3ELNS1_11target_archE908ELNS1_3gpuE7ELNS1_3repE0EEENS1_30default_config_static_selectorELNS0_4arch9wavefront6targetE1EEEvSM_
	.globl	_ZN7rocprim17ROCPRIM_400000_NS6detail17trampoline_kernelINS0_14default_configENS1_22reduce_config_selectorIfEEZNS1_11reduce_implILb1ES3_N6thrust23THRUST_200600_302600_NS11hip_rocprim26transform_input_iterator_tIfNS8_17counting_iteratorIiNS8_11use_defaultESC_SC_EE11estimate_piEEPffNS8_4plusIfEEEE10hipError_tPvRmT1_T2_T3_mT4_P12ihipStream_tbEUlT_E0_NS1_11comp_targetILNS1_3genE3ELNS1_11target_archE908ELNS1_3gpuE7ELNS1_3repE0EEENS1_30default_config_static_selectorELNS0_4arch9wavefront6targetE1EEEvSM_
	.p2align	8
	.type	_ZN7rocprim17ROCPRIM_400000_NS6detail17trampoline_kernelINS0_14default_configENS1_22reduce_config_selectorIfEEZNS1_11reduce_implILb1ES3_N6thrust23THRUST_200600_302600_NS11hip_rocprim26transform_input_iterator_tIfNS8_17counting_iteratorIiNS8_11use_defaultESC_SC_EE11estimate_piEEPffNS8_4plusIfEEEE10hipError_tPvRmT1_T2_T3_mT4_P12ihipStream_tbEUlT_E0_NS1_11comp_targetILNS1_3genE3ELNS1_11target_archE908ELNS1_3gpuE7ELNS1_3repE0EEENS1_30default_config_static_selectorELNS0_4arch9wavefront6targetE1EEEvSM_,@function
_ZN7rocprim17ROCPRIM_400000_NS6detail17trampoline_kernelINS0_14default_configENS1_22reduce_config_selectorIfEEZNS1_11reduce_implILb1ES3_N6thrust23THRUST_200600_302600_NS11hip_rocprim26transform_input_iterator_tIfNS8_17counting_iteratorIiNS8_11use_defaultESC_SC_EE11estimate_piEEPffNS8_4plusIfEEEE10hipError_tPvRmT1_T2_T3_mT4_P12ihipStream_tbEUlT_E0_NS1_11comp_targetILNS1_3genE3ELNS1_11target_archE908ELNS1_3gpuE7ELNS1_3repE0EEENS1_30default_config_static_selectorELNS0_4arch9wavefront6targetE1EEEvSM_: ; @_ZN7rocprim17ROCPRIM_400000_NS6detail17trampoline_kernelINS0_14default_configENS1_22reduce_config_selectorIfEEZNS1_11reduce_implILb1ES3_N6thrust23THRUST_200600_302600_NS11hip_rocprim26transform_input_iterator_tIfNS8_17counting_iteratorIiNS8_11use_defaultESC_SC_EE11estimate_piEEPffNS8_4plusIfEEEE10hipError_tPvRmT1_T2_T3_mT4_P12ihipStream_tbEUlT_E0_NS1_11comp_targetILNS1_3genE3ELNS1_11target_archE908ELNS1_3gpuE7ELNS1_3repE0EEENS1_30default_config_static_selectorELNS0_4arch9wavefront6targetE1EEEvSM_
; %bb.0:
	.section	.rodata,"a",@progbits
	.p2align	6, 0x0
	.amdhsa_kernel _ZN7rocprim17ROCPRIM_400000_NS6detail17trampoline_kernelINS0_14default_configENS1_22reduce_config_selectorIfEEZNS1_11reduce_implILb1ES3_N6thrust23THRUST_200600_302600_NS11hip_rocprim26transform_input_iterator_tIfNS8_17counting_iteratorIiNS8_11use_defaultESC_SC_EE11estimate_piEEPffNS8_4plusIfEEEE10hipError_tPvRmT1_T2_T3_mT4_P12ihipStream_tbEUlT_E0_NS1_11comp_targetILNS1_3genE3ELNS1_11target_archE908ELNS1_3gpuE7ELNS1_3repE0EEENS1_30default_config_static_selectorELNS0_4arch9wavefront6targetE1EEEvSM_
		.amdhsa_group_segment_fixed_size 0
		.amdhsa_private_segment_fixed_size 0
		.amdhsa_kernarg_size 56
		.amdhsa_user_sgpr_count 6
		.amdhsa_user_sgpr_private_segment_buffer 1
		.amdhsa_user_sgpr_dispatch_ptr 0
		.amdhsa_user_sgpr_queue_ptr 0
		.amdhsa_user_sgpr_kernarg_segment_ptr 1
		.amdhsa_user_sgpr_dispatch_id 0
		.amdhsa_user_sgpr_flat_scratch_init 0
		.amdhsa_user_sgpr_kernarg_preload_length 0
		.amdhsa_user_sgpr_kernarg_preload_offset 0
		.amdhsa_user_sgpr_private_segment_size 0
		.amdhsa_uses_dynamic_stack 0
		.amdhsa_system_sgpr_private_segment_wavefront_offset 0
		.amdhsa_system_sgpr_workgroup_id_x 1
		.amdhsa_system_sgpr_workgroup_id_y 0
		.amdhsa_system_sgpr_workgroup_id_z 0
		.amdhsa_system_sgpr_workgroup_info 0
		.amdhsa_system_vgpr_workitem_id 0
		.amdhsa_next_free_vgpr 1
		.amdhsa_next_free_sgpr 0
		.amdhsa_accum_offset 4
		.amdhsa_reserve_vcc 0
		.amdhsa_reserve_flat_scratch 0
		.amdhsa_float_round_mode_32 0
		.amdhsa_float_round_mode_16_64 0
		.amdhsa_float_denorm_mode_32 3
		.amdhsa_float_denorm_mode_16_64 3
		.amdhsa_dx10_clamp 1
		.amdhsa_ieee_mode 1
		.amdhsa_fp16_overflow 0
		.amdhsa_tg_split 0
		.amdhsa_exception_fp_ieee_invalid_op 0
		.amdhsa_exception_fp_denorm_src 0
		.amdhsa_exception_fp_ieee_div_zero 0
		.amdhsa_exception_fp_ieee_overflow 0
		.amdhsa_exception_fp_ieee_underflow 0
		.amdhsa_exception_fp_ieee_inexact 0
		.amdhsa_exception_int_div_zero 0
	.end_amdhsa_kernel
	.section	.text._ZN7rocprim17ROCPRIM_400000_NS6detail17trampoline_kernelINS0_14default_configENS1_22reduce_config_selectorIfEEZNS1_11reduce_implILb1ES3_N6thrust23THRUST_200600_302600_NS11hip_rocprim26transform_input_iterator_tIfNS8_17counting_iteratorIiNS8_11use_defaultESC_SC_EE11estimate_piEEPffNS8_4plusIfEEEE10hipError_tPvRmT1_T2_T3_mT4_P12ihipStream_tbEUlT_E0_NS1_11comp_targetILNS1_3genE3ELNS1_11target_archE908ELNS1_3gpuE7ELNS1_3repE0EEENS1_30default_config_static_selectorELNS0_4arch9wavefront6targetE1EEEvSM_,"axG",@progbits,_ZN7rocprim17ROCPRIM_400000_NS6detail17trampoline_kernelINS0_14default_configENS1_22reduce_config_selectorIfEEZNS1_11reduce_implILb1ES3_N6thrust23THRUST_200600_302600_NS11hip_rocprim26transform_input_iterator_tIfNS8_17counting_iteratorIiNS8_11use_defaultESC_SC_EE11estimate_piEEPffNS8_4plusIfEEEE10hipError_tPvRmT1_T2_T3_mT4_P12ihipStream_tbEUlT_E0_NS1_11comp_targetILNS1_3genE3ELNS1_11target_archE908ELNS1_3gpuE7ELNS1_3repE0EEENS1_30default_config_static_selectorELNS0_4arch9wavefront6targetE1EEEvSM_,comdat
.Lfunc_end21:
	.size	_ZN7rocprim17ROCPRIM_400000_NS6detail17trampoline_kernelINS0_14default_configENS1_22reduce_config_selectorIfEEZNS1_11reduce_implILb1ES3_N6thrust23THRUST_200600_302600_NS11hip_rocprim26transform_input_iterator_tIfNS8_17counting_iteratorIiNS8_11use_defaultESC_SC_EE11estimate_piEEPffNS8_4plusIfEEEE10hipError_tPvRmT1_T2_T3_mT4_P12ihipStream_tbEUlT_E0_NS1_11comp_targetILNS1_3genE3ELNS1_11target_archE908ELNS1_3gpuE7ELNS1_3repE0EEENS1_30default_config_static_selectorELNS0_4arch9wavefront6targetE1EEEvSM_, .Lfunc_end21-_ZN7rocprim17ROCPRIM_400000_NS6detail17trampoline_kernelINS0_14default_configENS1_22reduce_config_selectorIfEEZNS1_11reduce_implILb1ES3_N6thrust23THRUST_200600_302600_NS11hip_rocprim26transform_input_iterator_tIfNS8_17counting_iteratorIiNS8_11use_defaultESC_SC_EE11estimate_piEEPffNS8_4plusIfEEEE10hipError_tPvRmT1_T2_T3_mT4_P12ihipStream_tbEUlT_E0_NS1_11comp_targetILNS1_3genE3ELNS1_11target_archE908ELNS1_3gpuE7ELNS1_3repE0EEENS1_30default_config_static_selectorELNS0_4arch9wavefront6targetE1EEEvSM_
                                        ; -- End function
	.section	.AMDGPU.csdata,"",@progbits
; Kernel info:
; codeLenInByte = 0
; NumSgprs: 4
; NumVgprs: 0
; NumAgprs: 0
; TotalNumVgprs: 0
; ScratchSize: 0
; MemoryBound: 0
; FloatMode: 240
; IeeeMode: 1
; LDSByteSize: 0 bytes/workgroup (compile time only)
; SGPRBlocks: 0
; VGPRBlocks: 0
; NumSGPRsForWavesPerEU: 4
; NumVGPRsForWavesPerEU: 1
; AccumOffset: 4
; Occupancy: 8
; WaveLimiterHint : 0
; COMPUTE_PGM_RSRC2:SCRATCH_EN: 0
; COMPUTE_PGM_RSRC2:USER_SGPR: 6
; COMPUTE_PGM_RSRC2:TRAP_HANDLER: 0
; COMPUTE_PGM_RSRC2:TGID_X_EN: 1
; COMPUTE_PGM_RSRC2:TGID_Y_EN: 0
; COMPUTE_PGM_RSRC2:TGID_Z_EN: 0
; COMPUTE_PGM_RSRC2:TIDIG_COMP_CNT: 0
; COMPUTE_PGM_RSRC3_GFX90A:ACCUM_OFFSET: 0
; COMPUTE_PGM_RSRC3_GFX90A:TG_SPLIT: 0
	.section	.text._ZN7rocprim17ROCPRIM_400000_NS6detail17trampoline_kernelINS0_14default_configENS1_22reduce_config_selectorIfEEZNS1_11reduce_implILb1ES3_N6thrust23THRUST_200600_302600_NS11hip_rocprim26transform_input_iterator_tIfNS8_17counting_iteratorIiNS8_11use_defaultESC_SC_EE11estimate_piEEPffNS8_4plusIfEEEE10hipError_tPvRmT1_T2_T3_mT4_P12ihipStream_tbEUlT_E0_NS1_11comp_targetILNS1_3genE2ELNS1_11target_archE906ELNS1_3gpuE6ELNS1_3repE0EEENS1_30default_config_static_selectorELNS0_4arch9wavefront6targetE1EEEvSM_,"axG",@progbits,_ZN7rocprim17ROCPRIM_400000_NS6detail17trampoline_kernelINS0_14default_configENS1_22reduce_config_selectorIfEEZNS1_11reduce_implILb1ES3_N6thrust23THRUST_200600_302600_NS11hip_rocprim26transform_input_iterator_tIfNS8_17counting_iteratorIiNS8_11use_defaultESC_SC_EE11estimate_piEEPffNS8_4plusIfEEEE10hipError_tPvRmT1_T2_T3_mT4_P12ihipStream_tbEUlT_E0_NS1_11comp_targetILNS1_3genE2ELNS1_11target_archE906ELNS1_3gpuE6ELNS1_3repE0EEENS1_30default_config_static_selectorELNS0_4arch9wavefront6targetE1EEEvSM_,comdat
	.protected	_ZN7rocprim17ROCPRIM_400000_NS6detail17trampoline_kernelINS0_14default_configENS1_22reduce_config_selectorIfEEZNS1_11reduce_implILb1ES3_N6thrust23THRUST_200600_302600_NS11hip_rocprim26transform_input_iterator_tIfNS8_17counting_iteratorIiNS8_11use_defaultESC_SC_EE11estimate_piEEPffNS8_4plusIfEEEE10hipError_tPvRmT1_T2_T3_mT4_P12ihipStream_tbEUlT_E0_NS1_11comp_targetILNS1_3genE2ELNS1_11target_archE906ELNS1_3gpuE6ELNS1_3repE0EEENS1_30default_config_static_selectorELNS0_4arch9wavefront6targetE1EEEvSM_ ; -- Begin function _ZN7rocprim17ROCPRIM_400000_NS6detail17trampoline_kernelINS0_14default_configENS1_22reduce_config_selectorIfEEZNS1_11reduce_implILb1ES3_N6thrust23THRUST_200600_302600_NS11hip_rocprim26transform_input_iterator_tIfNS8_17counting_iteratorIiNS8_11use_defaultESC_SC_EE11estimate_piEEPffNS8_4plusIfEEEE10hipError_tPvRmT1_T2_T3_mT4_P12ihipStream_tbEUlT_E0_NS1_11comp_targetILNS1_3genE2ELNS1_11target_archE906ELNS1_3gpuE6ELNS1_3repE0EEENS1_30default_config_static_selectorELNS0_4arch9wavefront6targetE1EEEvSM_
	.globl	_ZN7rocprim17ROCPRIM_400000_NS6detail17trampoline_kernelINS0_14default_configENS1_22reduce_config_selectorIfEEZNS1_11reduce_implILb1ES3_N6thrust23THRUST_200600_302600_NS11hip_rocprim26transform_input_iterator_tIfNS8_17counting_iteratorIiNS8_11use_defaultESC_SC_EE11estimate_piEEPffNS8_4plusIfEEEE10hipError_tPvRmT1_T2_T3_mT4_P12ihipStream_tbEUlT_E0_NS1_11comp_targetILNS1_3genE2ELNS1_11target_archE906ELNS1_3gpuE6ELNS1_3repE0EEENS1_30default_config_static_selectorELNS0_4arch9wavefront6targetE1EEEvSM_
	.p2align	8
	.type	_ZN7rocprim17ROCPRIM_400000_NS6detail17trampoline_kernelINS0_14default_configENS1_22reduce_config_selectorIfEEZNS1_11reduce_implILb1ES3_N6thrust23THRUST_200600_302600_NS11hip_rocprim26transform_input_iterator_tIfNS8_17counting_iteratorIiNS8_11use_defaultESC_SC_EE11estimate_piEEPffNS8_4plusIfEEEE10hipError_tPvRmT1_T2_T3_mT4_P12ihipStream_tbEUlT_E0_NS1_11comp_targetILNS1_3genE2ELNS1_11target_archE906ELNS1_3gpuE6ELNS1_3repE0EEENS1_30default_config_static_selectorELNS0_4arch9wavefront6targetE1EEEvSM_,@function
_ZN7rocprim17ROCPRIM_400000_NS6detail17trampoline_kernelINS0_14default_configENS1_22reduce_config_selectorIfEEZNS1_11reduce_implILb1ES3_N6thrust23THRUST_200600_302600_NS11hip_rocprim26transform_input_iterator_tIfNS8_17counting_iteratorIiNS8_11use_defaultESC_SC_EE11estimate_piEEPffNS8_4plusIfEEEE10hipError_tPvRmT1_T2_T3_mT4_P12ihipStream_tbEUlT_E0_NS1_11comp_targetILNS1_3genE2ELNS1_11target_archE906ELNS1_3gpuE6ELNS1_3repE0EEENS1_30default_config_static_selectorELNS0_4arch9wavefront6targetE1EEEvSM_: ; @_ZN7rocprim17ROCPRIM_400000_NS6detail17trampoline_kernelINS0_14default_configENS1_22reduce_config_selectorIfEEZNS1_11reduce_implILb1ES3_N6thrust23THRUST_200600_302600_NS11hip_rocprim26transform_input_iterator_tIfNS8_17counting_iteratorIiNS8_11use_defaultESC_SC_EE11estimate_piEEPffNS8_4plusIfEEEE10hipError_tPvRmT1_T2_T3_mT4_P12ihipStream_tbEUlT_E0_NS1_11comp_targetILNS1_3genE2ELNS1_11target_archE906ELNS1_3gpuE6ELNS1_3repE0EEENS1_30default_config_static_selectorELNS0_4arch9wavefront6targetE1EEEvSM_
; %bb.0:
	.section	.rodata,"a",@progbits
	.p2align	6, 0x0
	.amdhsa_kernel _ZN7rocprim17ROCPRIM_400000_NS6detail17trampoline_kernelINS0_14default_configENS1_22reduce_config_selectorIfEEZNS1_11reduce_implILb1ES3_N6thrust23THRUST_200600_302600_NS11hip_rocprim26transform_input_iterator_tIfNS8_17counting_iteratorIiNS8_11use_defaultESC_SC_EE11estimate_piEEPffNS8_4plusIfEEEE10hipError_tPvRmT1_T2_T3_mT4_P12ihipStream_tbEUlT_E0_NS1_11comp_targetILNS1_3genE2ELNS1_11target_archE906ELNS1_3gpuE6ELNS1_3repE0EEENS1_30default_config_static_selectorELNS0_4arch9wavefront6targetE1EEEvSM_
		.amdhsa_group_segment_fixed_size 0
		.amdhsa_private_segment_fixed_size 0
		.amdhsa_kernarg_size 56
		.amdhsa_user_sgpr_count 6
		.amdhsa_user_sgpr_private_segment_buffer 1
		.amdhsa_user_sgpr_dispatch_ptr 0
		.amdhsa_user_sgpr_queue_ptr 0
		.amdhsa_user_sgpr_kernarg_segment_ptr 1
		.amdhsa_user_sgpr_dispatch_id 0
		.amdhsa_user_sgpr_flat_scratch_init 0
		.amdhsa_user_sgpr_kernarg_preload_length 0
		.amdhsa_user_sgpr_kernarg_preload_offset 0
		.amdhsa_user_sgpr_private_segment_size 0
		.amdhsa_uses_dynamic_stack 0
		.amdhsa_system_sgpr_private_segment_wavefront_offset 0
		.amdhsa_system_sgpr_workgroup_id_x 1
		.amdhsa_system_sgpr_workgroup_id_y 0
		.amdhsa_system_sgpr_workgroup_id_z 0
		.amdhsa_system_sgpr_workgroup_info 0
		.amdhsa_system_vgpr_workitem_id 0
		.amdhsa_next_free_vgpr 1
		.amdhsa_next_free_sgpr 0
		.amdhsa_accum_offset 4
		.amdhsa_reserve_vcc 0
		.amdhsa_reserve_flat_scratch 0
		.amdhsa_float_round_mode_32 0
		.amdhsa_float_round_mode_16_64 0
		.amdhsa_float_denorm_mode_32 3
		.amdhsa_float_denorm_mode_16_64 3
		.amdhsa_dx10_clamp 1
		.amdhsa_ieee_mode 1
		.amdhsa_fp16_overflow 0
		.amdhsa_tg_split 0
		.amdhsa_exception_fp_ieee_invalid_op 0
		.amdhsa_exception_fp_denorm_src 0
		.amdhsa_exception_fp_ieee_div_zero 0
		.amdhsa_exception_fp_ieee_overflow 0
		.amdhsa_exception_fp_ieee_underflow 0
		.amdhsa_exception_fp_ieee_inexact 0
		.amdhsa_exception_int_div_zero 0
	.end_amdhsa_kernel
	.section	.text._ZN7rocprim17ROCPRIM_400000_NS6detail17trampoline_kernelINS0_14default_configENS1_22reduce_config_selectorIfEEZNS1_11reduce_implILb1ES3_N6thrust23THRUST_200600_302600_NS11hip_rocprim26transform_input_iterator_tIfNS8_17counting_iteratorIiNS8_11use_defaultESC_SC_EE11estimate_piEEPffNS8_4plusIfEEEE10hipError_tPvRmT1_T2_T3_mT4_P12ihipStream_tbEUlT_E0_NS1_11comp_targetILNS1_3genE2ELNS1_11target_archE906ELNS1_3gpuE6ELNS1_3repE0EEENS1_30default_config_static_selectorELNS0_4arch9wavefront6targetE1EEEvSM_,"axG",@progbits,_ZN7rocprim17ROCPRIM_400000_NS6detail17trampoline_kernelINS0_14default_configENS1_22reduce_config_selectorIfEEZNS1_11reduce_implILb1ES3_N6thrust23THRUST_200600_302600_NS11hip_rocprim26transform_input_iterator_tIfNS8_17counting_iteratorIiNS8_11use_defaultESC_SC_EE11estimate_piEEPffNS8_4plusIfEEEE10hipError_tPvRmT1_T2_T3_mT4_P12ihipStream_tbEUlT_E0_NS1_11comp_targetILNS1_3genE2ELNS1_11target_archE906ELNS1_3gpuE6ELNS1_3repE0EEENS1_30default_config_static_selectorELNS0_4arch9wavefront6targetE1EEEvSM_,comdat
.Lfunc_end22:
	.size	_ZN7rocprim17ROCPRIM_400000_NS6detail17trampoline_kernelINS0_14default_configENS1_22reduce_config_selectorIfEEZNS1_11reduce_implILb1ES3_N6thrust23THRUST_200600_302600_NS11hip_rocprim26transform_input_iterator_tIfNS8_17counting_iteratorIiNS8_11use_defaultESC_SC_EE11estimate_piEEPffNS8_4plusIfEEEE10hipError_tPvRmT1_T2_T3_mT4_P12ihipStream_tbEUlT_E0_NS1_11comp_targetILNS1_3genE2ELNS1_11target_archE906ELNS1_3gpuE6ELNS1_3repE0EEENS1_30default_config_static_selectorELNS0_4arch9wavefront6targetE1EEEvSM_, .Lfunc_end22-_ZN7rocprim17ROCPRIM_400000_NS6detail17trampoline_kernelINS0_14default_configENS1_22reduce_config_selectorIfEEZNS1_11reduce_implILb1ES3_N6thrust23THRUST_200600_302600_NS11hip_rocprim26transform_input_iterator_tIfNS8_17counting_iteratorIiNS8_11use_defaultESC_SC_EE11estimate_piEEPffNS8_4plusIfEEEE10hipError_tPvRmT1_T2_T3_mT4_P12ihipStream_tbEUlT_E0_NS1_11comp_targetILNS1_3genE2ELNS1_11target_archE906ELNS1_3gpuE6ELNS1_3repE0EEENS1_30default_config_static_selectorELNS0_4arch9wavefront6targetE1EEEvSM_
                                        ; -- End function
	.section	.AMDGPU.csdata,"",@progbits
; Kernel info:
; codeLenInByte = 0
; NumSgprs: 4
; NumVgprs: 0
; NumAgprs: 0
; TotalNumVgprs: 0
; ScratchSize: 0
; MemoryBound: 0
; FloatMode: 240
; IeeeMode: 1
; LDSByteSize: 0 bytes/workgroup (compile time only)
; SGPRBlocks: 0
; VGPRBlocks: 0
; NumSGPRsForWavesPerEU: 4
; NumVGPRsForWavesPerEU: 1
; AccumOffset: 4
; Occupancy: 8
; WaveLimiterHint : 0
; COMPUTE_PGM_RSRC2:SCRATCH_EN: 0
; COMPUTE_PGM_RSRC2:USER_SGPR: 6
; COMPUTE_PGM_RSRC2:TRAP_HANDLER: 0
; COMPUTE_PGM_RSRC2:TGID_X_EN: 1
; COMPUTE_PGM_RSRC2:TGID_Y_EN: 0
; COMPUTE_PGM_RSRC2:TGID_Z_EN: 0
; COMPUTE_PGM_RSRC2:TIDIG_COMP_CNT: 0
; COMPUTE_PGM_RSRC3_GFX90A:ACCUM_OFFSET: 0
; COMPUTE_PGM_RSRC3_GFX90A:TG_SPLIT: 0
	.section	.text._ZN7rocprim17ROCPRIM_400000_NS6detail17trampoline_kernelINS0_14default_configENS1_22reduce_config_selectorIfEEZNS1_11reduce_implILb1ES3_N6thrust23THRUST_200600_302600_NS11hip_rocprim26transform_input_iterator_tIfNS8_17counting_iteratorIiNS8_11use_defaultESC_SC_EE11estimate_piEEPffNS8_4plusIfEEEE10hipError_tPvRmT1_T2_T3_mT4_P12ihipStream_tbEUlT_E0_NS1_11comp_targetILNS1_3genE10ELNS1_11target_archE1201ELNS1_3gpuE5ELNS1_3repE0EEENS1_30default_config_static_selectorELNS0_4arch9wavefront6targetE1EEEvSM_,"axG",@progbits,_ZN7rocprim17ROCPRIM_400000_NS6detail17trampoline_kernelINS0_14default_configENS1_22reduce_config_selectorIfEEZNS1_11reduce_implILb1ES3_N6thrust23THRUST_200600_302600_NS11hip_rocprim26transform_input_iterator_tIfNS8_17counting_iteratorIiNS8_11use_defaultESC_SC_EE11estimate_piEEPffNS8_4plusIfEEEE10hipError_tPvRmT1_T2_T3_mT4_P12ihipStream_tbEUlT_E0_NS1_11comp_targetILNS1_3genE10ELNS1_11target_archE1201ELNS1_3gpuE5ELNS1_3repE0EEENS1_30default_config_static_selectorELNS0_4arch9wavefront6targetE1EEEvSM_,comdat
	.protected	_ZN7rocprim17ROCPRIM_400000_NS6detail17trampoline_kernelINS0_14default_configENS1_22reduce_config_selectorIfEEZNS1_11reduce_implILb1ES3_N6thrust23THRUST_200600_302600_NS11hip_rocprim26transform_input_iterator_tIfNS8_17counting_iteratorIiNS8_11use_defaultESC_SC_EE11estimate_piEEPffNS8_4plusIfEEEE10hipError_tPvRmT1_T2_T3_mT4_P12ihipStream_tbEUlT_E0_NS1_11comp_targetILNS1_3genE10ELNS1_11target_archE1201ELNS1_3gpuE5ELNS1_3repE0EEENS1_30default_config_static_selectorELNS0_4arch9wavefront6targetE1EEEvSM_ ; -- Begin function _ZN7rocprim17ROCPRIM_400000_NS6detail17trampoline_kernelINS0_14default_configENS1_22reduce_config_selectorIfEEZNS1_11reduce_implILb1ES3_N6thrust23THRUST_200600_302600_NS11hip_rocprim26transform_input_iterator_tIfNS8_17counting_iteratorIiNS8_11use_defaultESC_SC_EE11estimate_piEEPffNS8_4plusIfEEEE10hipError_tPvRmT1_T2_T3_mT4_P12ihipStream_tbEUlT_E0_NS1_11comp_targetILNS1_3genE10ELNS1_11target_archE1201ELNS1_3gpuE5ELNS1_3repE0EEENS1_30default_config_static_selectorELNS0_4arch9wavefront6targetE1EEEvSM_
	.globl	_ZN7rocprim17ROCPRIM_400000_NS6detail17trampoline_kernelINS0_14default_configENS1_22reduce_config_selectorIfEEZNS1_11reduce_implILb1ES3_N6thrust23THRUST_200600_302600_NS11hip_rocprim26transform_input_iterator_tIfNS8_17counting_iteratorIiNS8_11use_defaultESC_SC_EE11estimate_piEEPffNS8_4plusIfEEEE10hipError_tPvRmT1_T2_T3_mT4_P12ihipStream_tbEUlT_E0_NS1_11comp_targetILNS1_3genE10ELNS1_11target_archE1201ELNS1_3gpuE5ELNS1_3repE0EEENS1_30default_config_static_selectorELNS0_4arch9wavefront6targetE1EEEvSM_
	.p2align	8
	.type	_ZN7rocprim17ROCPRIM_400000_NS6detail17trampoline_kernelINS0_14default_configENS1_22reduce_config_selectorIfEEZNS1_11reduce_implILb1ES3_N6thrust23THRUST_200600_302600_NS11hip_rocprim26transform_input_iterator_tIfNS8_17counting_iteratorIiNS8_11use_defaultESC_SC_EE11estimate_piEEPffNS8_4plusIfEEEE10hipError_tPvRmT1_T2_T3_mT4_P12ihipStream_tbEUlT_E0_NS1_11comp_targetILNS1_3genE10ELNS1_11target_archE1201ELNS1_3gpuE5ELNS1_3repE0EEENS1_30default_config_static_selectorELNS0_4arch9wavefront6targetE1EEEvSM_,@function
_ZN7rocprim17ROCPRIM_400000_NS6detail17trampoline_kernelINS0_14default_configENS1_22reduce_config_selectorIfEEZNS1_11reduce_implILb1ES3_N6thrust23THRUST_200600_302600_NS11hip_rocprim26transform_input_iterator_tIfNS8_17counting_iteratorIiNS8_11use_defaultESC_SC_EE11estimate_piEEPffNS8_4plusIfEEEE10hipError_tPvRmT1_T2_T3_mT4_P12ihipStream_tbEUlT_E0_NS1_11comp_targetILNS1_3genE10ELNS1_11target_archE1201ELNS1_3gpuE5ELNS1_3repE0EEENS1_30default_config_static_selectorELNS0_4arch9wavefront6targetE1EEEvSM_: ; @_ZN7rocprim17ROCPRIM_400000_NS6detail17trampoline_kernelINS0_14default_configENS1_22reduce_config_selectorIfEEZNS1_11reduce_implILb1ES3_N6thrust23THRUST_200600_302600_NS11hip_rocprim26transform_input_iterator_tIfNS8_17counting_iteratorIiNS8_11use_defaultESC_SC_EE11estimate_piEEPffNS8_4plusIfEEEE10hipError_tPvRmT1_T2_T3_mT4_P12ihipStream_tbEUlT_E0_NS1_11comp_targetILNS1_3genE10ELNS1_11target_archE1201ELNS1_3gpuE5ELNS1_3repE0EEENS1_30default_config_static_selectorELNS0_4arch9wavefront6targetE1EEEvSM_
; %bb.0:
	.section	.rodata,"a",@progbits
	.p2align	6, 0x0
	.amdhsa_kernel _ZN7rocprim17ROCPRIM_400000_NS6detail17trampoline_kernelINS0_14default_configENS1_22reduce_config_selectorIfEEZNS1_11reduce_implILb1ES3_N6thrust23THRUST_200600_302600_NS11hip_rocprim26transform_input_iterator_tIfNS8_17counting_iteratorIiNS8_11use_defaultESC_SC_EE11estimate_piEEPffNS8_4plusIfEEEE10hipError_tPvRmT1_T2_T3_mT4_P12ihipStream_tbEUlT_E0_NS1_11comp_targetILNS1_3genE10ELNS1_11target_archE1201ELNS1_3gpuE5ELNS1_3repE0EEENS1_30default_config_static_selectorELNS0_4arch9wavefront6targetE1EEEvSM_
		.amdhsa_group_segment_fixed_size 0
		.amdhsa_private_segment_fixed_size 0
		.amdhsa_kernarg_size 56
		.amdhsa_user_sgpr_count 6
		.amdhsa_user_sgpr_private_segment_buffer 1
		.amdhsa_user_sgpr_dispatch_ptr 0
		.amdhsa_user_sgpr_queue_ptr 0
		.amdhsa_user_sgpr_kernarg_segment_ptr 1
		.amdhsa_user_sgpr_dispatch_id 0
		.amdhsa_user_sgpr_flat_scratch_init 0
		.amdhsa_user_sgpr_kernarg_preload_length 0
		.amdhsa_user_sgpr_kernarg_preload_offset 0
		.amdhsa_user_sgpr_private_segment_size 0
		.amdhsa_uses_dynamic_stack 0
		.amdhsa_system_sgpr_private_segment_wavefront_offset 0
		.amdhsa_system_sgpr_workgroup_id_x 1
		.amdhsa_system_sgpr_workgroup_id_y 0
		.amdhsa_system_sgpr_workgroup_id_z 0
		.amdhsa_system_sgpr_workgroup_info 0
		.amdhsa_system_vgpr_workitem_id 0
		.amdhsa_next_free_vgpr 1
		.amdhsa_next_free_sgpr 0
		.amdhsa_accum_offset 4
		.amdhsa_reserve_vcc 0
		.amdhsa_reserve_flat_scratch 0
		.amdhsa_float_round_mode_32 0
		.amdhsa_float_round_mode_16_64 0
		.amdhsa_float_denorm_mode_32 3
		.amdhsa_float_denorm_mode_16_64 3
		.amdhsa_dx10_clamp 1
		.amdhsa_ieee_mode 1
		.amdhsa_fp16_overflow 0
		.amdhsa_tg_split 0
		.amdhsa_exception_fp_ieee_invalid_op 0
		.amdhsa_exception_fp_denorm_src 0
		.amdhsa_exception_fp_ieee_div_zero 0
		.amdhsa_exception_fp_ieee_overflow 0
		.amdhsa_exception_fp_ieee_underflow 0
		.amdhsa_exception_fp_ieee_inexact 0
		.amdhsa_exception_int_div_zero 0
	.end_amdhsa_kernel
	.section	.text._ZN7rocprim17ROCPRIM_400000_NS6detail17trampoline_kernelINS0_14default_configENS1_22reduce_config_selectorIfEEZNS1_11reduce_implILb1ES3_N6thrust23THRUST_200600_302600_NS11hip_rocprim26transform_input_iterator_tIfNS8_17counting_iteratorIiNS8_11use_defaultESC_SC_EE11estimate_piEEPffNS8_4plusIfEEEE10hipError_tPvRmT1_T2_T3_mT4_P12ihipStream_tbEUlT_E0_NS1_11comp_targetILNS1_3genE10ELNS1_11target_archE1201ELNS1_3gpuE5ELNS1_3repE0EEENS1_30default_config_static_selectorELNS0_4arch9wavefront6targetE1EEEvSM_,"axG",@progbits,_ZN7rocprim17ROCPRIM_400000_NS6detail17trampoline_kernelINS0_14default_configENS1_22reduce_config_selectorIfEEZNS1_11reduce_implILb1ES3_N6thrust23THRUST_200600_302600_NS11hip_rocprim26transform_input_iterator_tIfNS8_17counting_iteratorIiNS8_11use_defaultESC_SC_EE11estimate_piEEPffNS8_4plusIfEEEE10hipError_tPvRmT1_T2_T3_mT4_P12ihipStream_tbEUlT_E0_NS1_11comp_targetILNS1_3genE10ELNS1_11target_archE1201ELNS1_3gpuE5ELNS1_3repE0EEENS1_30default_config_static_selectorELNS0_4arch9wavefront6targetE1EEEvSM_,comdat
.Lfunc_end23:
	.size	_ZN7rocprim17ROCPRIM_400000_NS6detail17trampoline_kernelINS0_14default_configENS1_22reduce_config_selectorIfEEZNS1_11reduce_implILb1ES3_N6thrust23THRUST_200600_302600_NS11hip_rocprim26transform_input_iterator_tIfNS8_17counting_iteratorIiNS8_11use_defaultESC_SC_EE11estimate_piEEPffNS8_4plusIfEEEE10hipError_tPvRmT1_T2_T3_mT4_P12ihipStream_tbEUlT_E0_NS1_11comp_targetILNS1_3genE10ELNS1_11target_archE1201ELNS1_3gpuE5ELNS1_3repE0EEENS1_30default_config_static_selectorELNS0_4arch9wavefront6targetE1EEEvSM_, .Lfunc_end23-_ZN7rocprim17ROCPRIM_400000_NS6detail17trampoline_kernelINS0_14default_configENS1_22reduce_config_selectorIfEEZNS1_11reduce_implILb1ES3_N6thrust23THRUST_200600_302600_NS11hip_rocprim26transform_input_iterator_tIfNS8_17counting_iteratorIiNS8_11use_defaultESC_SC_EE11estimate_piEEPffNS8_4plusIfEEEE10hipError_tPvRmT1_T2_T3_mT4_P12ihipStream_tbEUlT_E0_NS1_11comp_targetILNS1_3genE10ELNS1_11target_archE1201ELNS1_3gpuE5ELNS1_3repE0EEENS1_30default_config_static_selectorELNS0_4arch9wavefront6targetE1EEEvSM_
                                        ; -- End function
	.section	.AMDGPU.csdata,"",@progbits
; Kernel info:
; codeLenInByte = 0
; NumSgprs: 4
; NumVgprs: 0
; NumAgprs: 0
; TotalNumVgprs: 0
; ScratchSize: 0
; MemoryBound: 0
; FloatMode: 240
; IeeeMode: 1
; LDSByteSize: 0 bytes/workgroup (compile time only)
; SGPRBlocks: 0
; VGPRBlocks: 0
; NumSGPRsForWavesPerEU: 4
; NumVGPRsForWavesPerEU: 1
; AccumOffset: 4
; Occupancy: 8
; WaveLimiterHint : 0
; COMPUTE_PGM_RSRC2:SCRATCH_EN: 0
; COMPUTE_PGM_RSRC2:USER_SGPR: 6
; COMPUTE_PGM_RSRC2:TRAP_HANDLER: 0
; COMPUTE_PGM_RSRC2:TGID_X_EN: 1
; COMPUTE_PGM_RSRC2:TGID_Y_EN: 0
; COMPUTE_PGM_RSRC2:TGID_Z_EN: 0
; COMPUTE_PGM_RSRC2:TIDIG_COMP_CNT: 0
; COMPUTE_PGM_RSRC3_GFX90A:ACCUM_OFFSET: 0
; COMPUTE_PGM_RSRC3_GFX90A:TG_SPLIT: 0
	.section	.text._ZN7rocprim17ROCPRIM_400000_NS6detail17trampoline_kernelINS0_14default_configENS1_22reduce_config_selectorIfEEZNS1_11reduce_implILb1ES3_N6thrust23THRUST_200600_302600_NS11hip_rocprim26transform_input_iterator_tIfNS8_17counting_iteratorIiNS8_11use_defaultESC_SC_EE11estimate_piEEPffNS8_4plusIfEEEE10hipError_tPvRmT1_T2_T3_mT4_P12ihipStream_tbEUlT_E0_NS1_11comp_targetILNS1_3genE10ELNS1_11target_archE1200ELNS1_3gpuE4ELNS1_3repE0EEENS1_30default_config_static_selectorELNS0_4arch9wavefront6targetE1EEEvSM_,"axG",@progbits,_ZN7rocprim17ROCPRIM_400000_NS6detail17trampoline_kernelINS0_14default_configENS1_22reduce_config_selectorIfEEZNS1_11reduce_implILb1ES3_N6thrust23THRUST_200600_302600_NS11hip_rocprim26transform_input_iterator_tIfNS8_17counting_iteratorIiNS8_11use_defaultESC_SC_EE11estimate_piEEPffNS8_4plusIfEEEE10hipError_tPvRmT1_T2_T3_mT4_P12ihipStream_tbEUlT_E0_NS1_11comp_targetILNS1_3genE10ELNS1_11target_archE1200ELNS1_3gpuE4ELNS1_3repE0EEENS1_30default_config_static_selectorELNS0_4arch9wavefront6targetE1EEEvSM_,comdat
	.protected	_ZN7rocprim17ROCPRIM_400000_NS6detail17trampoline_kernelINS0_14default_configENS1_22reduce_config_selectorIfEEZNS1_11reduce_implILb1ES3_N6thrust23THRUST_200600_302600_NS11hip_rocprim26transform_input_iterator_tIfNS8_17counting_iteratorIiNS8_11use_defaultESC_SC_EE11estimate_piEEPffNS8_4plusIfEEEE10hipError_tPvRmT1_T2_T3_mT4_P12ihipStream_tbEUlT_E0_NS1_11comp_targetILNS1_3genE10ELNS1_11target_archE1200ELNS1_3gpuE4ELNS1_3repE0EEENS1_30default_config_static_selectorELNS0_4arch9wavefront6targetE1EEEvSM_ ; -- Begin function _ZN7rocprim17ROCPRIM_400000_NS6detail17trampoline_kernelINS0_14default_configENS1_22reduce_config_selectorIfEEZNS1_11reduce_implILb1ES3_N6thrust23THRUST_200600_302600_NS11hip_rocprim26transform_input_iterator_tIfNS8_17counting_iteratorIiNS8_11use_defaultESC_SC_EE11estimate_piEEPffNS8_4plusIfEEEE10hipError_tPvRmT1_T2_T3_mT4_P12ihipStream_tbEUlT_E0_NS1_11comp_targetILNS1_3genE10ELNS1_11target_archE1200ELNS1_3gpuE4ELNS1_3repE0EEENS1_30default_config_static_selectorELNS0_4arch9wavefront6targetE1EEEvSM_
	.globl	_ZN7rocprim17ROCPRIM_400000_NS6detail17trampoline_kernelINS0_14default_configENS1_22reduce_config_selectorIfEEZNS1_11reduce_implILb1ES3_N6thrust23THRUST_200600_302600_NS11hip_rocprim26transform_input_iterator_tIfNS8_17counting_iteratorIiNS8_11use_defaultESC_SC_EE11estimate_piEEPffNS8_4plusIfEEEE10hipError_tPvRmT1_T2_T3_mT4_P12ihipStream_tbEUlT_E0_NS1_11comp_targetILNS1_3genE10ELNS1_11target_archE1200ELNS1_3gpuE4ELNS1_3repE0EEENS1_30default_config_static_selectorELNS0_4arch9wavefront6targetE1EEEvSM_
	.p2align	8
	.type	_ZN7rocprim17ROCPRIM_400000_NS6detail17trampoline_kernelINS0_14default_configENS1_22reduce_config_selectorIfEEZNS1_11reduce_implILb1ES3_N6thrust23THRUST_200600_302600_NS11hip_rocprim26transform_input_iterator_tIfNS8_17counting_iteratorIiNS8_11use_defaultESC_SC_EE11estimate_piEEPffNS8_4plusIfEEEE10hipError_tPvRmT1_T2_T3_mT4_P12ihipStream_tbEUlT_E0_NS1_11comp_targetILNS1_3genE10ELNS1_11target_archE1200ELNS1_3gpuE4ELNS1_3repE0EEENS1_30default_config_static_selectorELNS0_4arch9wavefront6targetE1EEEvSM_,@function
_ZN7rocprim17ROCPRIM_400000_NS6detail17trampoline_kernelINS0_14default_configENS1_22reduce_config_selectorIfEEZNS1_11reduce_implILb1ES3_N6thrust23THRUST_200600_302600_NS11hip_rocprim26transform_input_iterator_tIfNS8_17counting_iteratorIiNS8_11use_defaultESC_SC_EE11estimate_piEEPffNS8_4plusIfEEEE10hipError_tPvRmT1_T2_T3_mT4_P12ihipStream_tbEUlT_E0_NS1_11comp_targetILNS1_3genE10ELNS1_11target_archE1200ELNS1_3gpuE4ELNS1_3repE0EEENS1_30default_config_static_selectorELNS0_4arch9wavefront6targetE1EEEvSM_: ; @_ZN7rocprim17ROCPRIM_400000_NS6detail17trampoline_kernelINS0_14default_configENS1_22reduce_config_selectorIfEEZNS1_11reduce_implILb1ES3_N6thrust23THRUST_200600_302600_NS11hip_rocprim26transform_input_iterator_tIfNS8_17counting_iteratorIiNS8_11use_defaultESC_SC_EE11estimate_piEEPffNS8_4plusIfEEEE10hipError_tPvRmT1_T2_T3_mT4_P12ihipStream_tbEUlT_E0_NS1_11comp_targetILNS1_3genE10ELNS1_11target_archE1200ELNS1_3gpuE4ELNS1_3repE0EEENS1_30default_config_static_selectorELNS0_4arch9wavefront6targetE1EEEvSM_
; %bb.0:
	.section	.rodata,"a",@progbits
	.p2align	6, 0x0
	.amdhsa_kernel _ZN7rocprim17ROCPRIM_400000_NS6detail17trampoline_kernelINS0_14default_configENS1_22reduce_config_selectorIfEEZNS1_11reduce_implILb1ES3_N6thrust23THRUST_200600_302600_NS11hip_rocprim26transform_input_iterator_tIfNS8_17counting_iteratorIiNS8_11use_defaultESC_SC_EE11estimate_piEEPffNS8_4plusIfEEEE10hipError_tPvRmT1_T2_T3_mT4_P12ihipStream_tbEUlT_E0_NS1_11comp_targetILNS1_3genE10ELNS1_11target_archE1200ELNS1_3gpuE4ELNS1_3repE0EEENS1_30default_config_static_selectorELNS0_4arch9wavefront6targetE1EEEvSM_
		.amdhsa_group_segment_fixed_size 0
		.amdhsa_private_segment_fixed_size 0
		.amdhsa_kernarg_size 56
		.amdhsa_user_sgpr_count 6
		.amdhsa_user_sgpr_private_segment_buffer 1
		.amdhsa_user_sgpr_dispatch_ptr 0
		.amdhsa_user_sgpr_queue_ptr 0
		.amdhsa_user_sgpr_kernarg_segment_ptr 1
		.amdhsa_user_sgpr_dispatch_id 0
		.amdhsa_user_sgpr_flat_scratch_init 0
		.amdhsa_user_sgpr_kernarg_preload_length 0
		.amdhsa_user_sgpr_kernarg_preload_offset 0
		.amdhsa_user_sgpr_private_segment_size 0
		.amdhsa_uses_dynamic_stack 0
		.amdhsa_system_sgpr_private_segment_wavefront_offset 0
		.amdhsa_system_sgpr_workgroup_id_x 1
		.amdhsa_system_sgpr_workgroup_id_y 0
		.amdhsa_system_sgpr_workgroup_id_z 0
		.amdhsa_system_sgpr_workgroup_info 0
		.amdhsa_system_vgpr_workitem_id 0
		.amdhsa_next_free_vgpr 1
		.amdhsa_next_free_sgpr 0
		.amdhsa_accum_offset 4
		.amdhsa_reserve_vcc 0
		.amdhsa_reserve_flat_scratch 0
		.amdhsa_float_round_mode_32 0
		.amdhsa_float_round_mode_16_64 0
		.amdhsa_float_denorm_mode_32 3
		.amdhsa_float_denorm_mode_16_64 3
		.amdhsa_dx10_clamp 1
		.amdhsa_ieee_mode 1
		.amdhsa_fp16_overflow 0
		.amdhsa_tg_split 0
		.amdhsa_exception_fp_ieee_invalid_op 0
		.amdhsa_exception_fp_denorm_src 0
		.amdhsa_exception_fp_ieee_div_zero 0
		.amdhsa_exception_fp_ieee_overflow 0
		.amdhsa_exception_fp_ieee_underflow 0
		.amdhsa_exception_fp_ieee_inexact 0
		.amdhsa_exception_int_div_zero 0
	.end_amdhsa_kernel
	.section	.text._ZN7rocprim17ROCPRIM_400000_NS6detail17trampoline_kernelINS0_14default_configENS1_22reduce_config_selectorIfEEZNS1_11reduce_implILb1ES3_N6thrust23THRUST_200600_302600_NS11hip_rocprim26transform_input_iterator_tIfNS8_17counting_iteratorIiNS8_11use_defaultESC_SC_EE11estimate_piEEPffNS8_4plusIfEEEE10hipError_tPvRmT1_T2_T3_mT4_P12ihipStream_tbEUlT_E0_NS1_11comp_targetILNS1_3genE10ELNS1_11target_archE1200ELNS1_3gpuE4ELNS1_3repE0EEENS1_30default_config_static_selectorELNS0_4arch9wavefront6targetE1EEEvSM_,"axG",@progbits,_ZN7rocprim17ROCPRIM_400000_NS6detail17trampoline_kernelINS0_14default_configENS1_22reduce_config_selectorIfEEZNS1_11reduce_implILb1ES3_N6thrust23THRUST_200600_302600_NS11hip_rocprim26transform_input_iterator_tIfNS8_17counting_iteratorIiNS8_11use_defaultESC_SC_EE11estimate_piEEPffNS8_4plusIfEEEE10hipError_tPvRmT1_T2_T3_mT4_P12ihipStream_tbEUlT_E0_NS1_11comp_targetILNS1_3genE10ELNS1_11target_archE1200ELNS1_3gpuE4ELNS1_3repE0EEENS1_30default_config_static_selectorELNS0_4arch9wavefront6targetE1EEEvSM_,comdat
.Lfunc_end24:
	.size	_ZN7rocprim17ROCPRIM_400000_NS6detail17trampoline_kernelINS0_14default_configENS1_22reduce_config_selectorIfEEZNS1_11reduce_implILb1ES3_N6thrust23THRUST_200600_302600_NS11hip_rocprim26transform_input_iterator_tIfNS8_17counting_iteratorIiNS8_11use_defaultESC_SC_EE11estimate_piEEPffNS8_4plusIfEEEE10hipError_tPvRmT1_T2_T3_mT4_P12ihipStream_tbEUlT_E0_NS1_11comp_targetILNS1_3genE10ELNS1_11target_archE1200ELNS1_3gpuE4ELNS1_3repE0EEENS1_30default_config_static_selectorELNS0_4arch9wavefront6targetE1EEEvSM_, .Lfunc_end24-_ZN7rocprim17ROCPRIM_400000_NS6detail17trampoline_kernelINS0_14default_configENS1_22reduce_config_selectorIfEEZNS1_11reduce_implILb1ES3_N6thrust23THRUST_200600_302600_NS11hip_rocprim26transform_input_iterator_tIfNS8_17counting_iteratorIiNS8_11use_defaultESC_SC_EE11estimate_piEEPffNS8_4plusIfEEEE10hipError_tPvRmT1_T2_T3_mT4_P12ihipStream_tbEUlT_E0_NS1_11comp_targetILNS1_3genE10ELNS1_11target_archE1200ELNS1_3gpuE4ELNS1_3repE0EEENS1_30default_config_static_selectorELNS0_4arch9wavefront6targetE1EEEvSM_
                                        ; -- End function
	.section	.AMDGPU.csdata,"",@progbits
; Kernel info:
; codeLenInByte = 0
; NumSgprs: 4
; NumVgprs: 0
; NumAgprs: 0
; TotalNumVgprs: 0
; ScratchSize: 0
; MemoryBound: 0
; FloatMode: 240
; IeeeMode: 1
; LDSByteSize: 0 bytes/workgroup (compile time only)
; SGPRBlocks: 0
; VGPRBlocks: 0
; NumSGPRsForWavesPerEU: 4
; NumVGPRsForWavesPerEU: 1
; AccumOffset: 4
; Occupancy: 8
; WaveLimiterHint : 0
; COMPUTE_PGM_RSRC2:SCRATCH_EN: 0
; COMPUTE_PGM_RSRC2:USER_SGPR: 6
; COMPUTE_PGM_RSRC2:TRAP_HANDLER: 0
; COMPUTE_PGM_RSRC2:TGID_X_EN: 1
; COMPUTE_PGM_RSRC2:TGID_Y_EN: 0
; COMPUTE_PGM_RSRC2:TGID_Z_EN: 0
; COMPUTE_PGM_RSRC2:TIDIG_COMP_CNT: 0
; COMPUTE_PGM_RSRC3_GFX90A:ACCUM_OFFSET: 0
; COMPUTE_PGM_RSRC3_GFX90A:TG_SPLIT: 0
	.section	.text._ZN7rocprim17ROCPRIM_400000_NS6detail17trampoline_kernelINS0_14default_configENS1_22reduce_config_selectorIfEEZNS1_11reduce_implILb1ES3_N6thrust23THRUST_200600_302600_NS11hip_rocprim26transform_input_iterator_tIfNS8_17counting_iteratorIiNS8_11use_defaultESC_SC_EE11estimate_piEEPffNS8_4plusIfEEEE10hipError_tPvRmT1_T2_T3_mT4_P12ihipStream_tbEUlT_E0_NS1_11comp_targetILNS1_3genE9ELNS1_11target_archE1100ELNS1_3gpuE3ELNS1_3repE0EEENS1_30default_config_static_selectorELNS0_4arch9wavefront6targetE1EEEvSM_,"axG",@progbits,_ZN7rocprim17ROCPRIM_400000_NS6detail17trampoline_kernelINS0_14default_configENS1_22reduce_config_selectorIfEEZNS1_11reduce_implILb1ES3_N6thrust23THRUST_200600_302600_NS11hip_rocprim26transform_input_iterator_tIfNS8_17counting_iteratorIiNS8_11use_defaultESC_SC_EE11estimate_piEEPffNS8_4plusIfEEEE10hipError_tPvRmT1_T2_T3_mT4_P12ihipStream_tbEUlT_E0_NS1_11comp_targetILNS1_3genE9ELNS1_11target_archE1100ELNS1_3gpuE3ELNS1_3repE0EEENS1_30default_config_static_selectorELNS0_4arch9wavefront6targetE1EEEvSM_,comdat
	.protected	_ZN7rocprim17ROCPRIM_400000_NS6detail17trampoline_kernelINS0_14default_configENS1_22reduce_config_selectorIfEEZNS1_11reduce_implILb1ES3_N6thrust23THRUST_200600_302600_NS11hip_rocprim26transform_input_iterator_tIfNS8_17counting_iteratorIiNS8_11use_defaultESC_SC_EE11estimate_piEEPffNS8_4plusIfEEEE10hipError_tPvRmT1_T2_T3_mT4_P12ihipStream_tbEUlT_E0_NS1_11comp_targetILNS1_3genE9ELNS1_11target_archE1100ELNS1_3gpuE3ELNS1_3repE0EEENS1_30default_config_static_selectorELNS0_4arch9wavefront6targetE1EEEvSM_ ; -- Begin function _ZN7rocprim17ROCPRIM_400000_NS6detail17trampoline_kernelINS0_14default_configENS1_22reduce_config_selectorIfEEZNS1_11reduce_implILb1ES3_N6thrust23THRUST_200600_302600_NS11hip_rocprim26transform_input_iterator_tIfNS8_17counting_iteratorIiNS8_11use_defaultESC_SC_EE11estimate_piEEPffNS8_4plusIfEEEE10hipError_tPvRmT1_T2_T3_mT4_P12ihipStream_tbEUlT_E0_NS1_11comp_targetILNS1_3genE9ELNS1_11target_archE1100ELNS1_3gpuE3ELNS1_3repE0EEENS1_30default_config_static_selectorELNS0_4arch9wavefront6targetE1EEEvSM_
	.globl	_ZN7rocprim17ROCPRIM_400000_NS6detail17trampoline_kernelINS0_14default_configENS1_22reduce_config_selectorIfEEZNS1_11reduce_implILb1ES3_N6thrust23THRUST_200600_302600_NS11hip_rocprim26transform_input_iterator_tIfNS8_17counting_iteratorIiNS8_11use_defaultESC_SC_EE11estimate_piEEPffNS8_4plusIfEEEE10hipError_tPvRmT1_T2_T3_mT4_P12ihipStream_tbEUlT_E0_NS1_11comp_targetILNS1_3genE9ELNS1_11target_archE1100ELNS1_3gpuE3ELNS1_3repE0EEENS1_30default_config_static_selectorELNS0_4arch9wavefront6targetE1EEEvSM_
	.p2align	8
	.type	_ZN7rocprim17ROCPRIM_400000_NS6detail17trampoline_kernelINS0_14default_configENS1_22reduce_config_selectorIfEEZNS1_11reduce_implILb1ES3_N6thrust23THRUST_200600_302600_NS11hip_rocprim26transform_input_iterator_tIfNS8_17counting_iteratorIiNS8_11use_defaultESC_SC_EE11estimate_piEEPffNS8_4plusIfEEEE10hipError_tPvRmT1_T2_T3_mT4_P12ihipStream_tbEUlT_E0_NS1_11comp_targetILNS1_3genE9ELNS1_11target_archE1100ELNS1_3gpuE3ELNS1_3repE0EEENS1_30default_config_static_selectorELNS0_4arch9wavefront6targetE1EEEvSM_,@function
_ZN7rocprim17ROCPRIM_400000_NS6detail17trampoline_kernelINS0_14default_configENS1_22reduce_config_selectorIfEEZNS1_11reduce_implILb1ES3_N6thrust23THRUST_200600_302600_NS11hip_rocprim26transform_input_iterator_tIfNS8_17counting_iteratorIiNS8_11use_defaultESC_SC_EE11estimate_piEEPffNS8_4plusIfEEEE10hipError_tPvRmT1_T2_T3_mT4_P12ihipStream_tbEUlT_E0_NS1_11comp_targetILNS1_3genE9ELNS1_11target_archE1100ELNS1_3gpuE3ELNS1_3repE0EEENS1_30default_config_static_selectorELNS0_4arch9wavefront6targetE1EEEvSM_: ; @_ZN7rocprim17ROCPRIM_400000_NS6detail17trampoline_kernelINS0_14default_configENS1_22reduce_config_selectorIfEEZNS1_11reduce_implILb1ES3_N6thrust23THRUST_200600_302600_NS11hip_rocprim26transform_input_iterator_tIfNS8_17counting_iteratorIiNS8_11use_defaultESC_SC_EE11estimate_piEEPffNS8_4plusIfEEEE10hipError_tPvRmT1_T2_T3_mT4_P12ihipStream_tbEUlT_E0_NS1_11comp_targetILNS1_3genE9ELNS1_11target_archE1100ELNS1_3gpuE3ELNS1_3repE0EEENS1_30default_config_static_selectorELNS0_4arch9wavefront6targetE1EEEvSM_
; %bb.0:
	.section	.rodata,"a",@progbits
	.p2align	6, 0x0
	.amdhsa_kernel _ZN7rocprim17ROCPRIM_400000_NS6detail17trampoline_kernelINS0_14default_configENS1_22reduce_config_selectorIfEEZNS1_11reduce_implILb1ES3_N6thrust23THRUST_200600_302600_NS11hip_rocprim26transform_input_iterator_tIfNS8_17counting_iteratorIiNS8_11use_defaultESC_SC_EE11estimate_piEEPffNS8_4plusIfEEEE10hipError_tPvRmT1_T2_T3_mT4_P12ihipStream_tbEUlT_E0_NS1_11comp_targetILNS1_3genE9ELNS1_11target_archE1100ELNS1_3gpuE3ELNS1_3repE0EEENS1_30default_config_static_selectorELNS0_4arch9wavefront6targetE1EEEvSM_
		.amdhsa_group_segment_fixed_size 0
		.amdhsa_private_segment_fixed_size 0
		.amdhsa_kernarg_size 56
		.amdhsa_user_sgpr_count 6
		.amdhsa_user_sgpr_private_segment_buffer 1
		.amdhsa_user_sgpr_dispatch_ptr 0
		.amdhsa_user_sgpr_queue_ptr 0
		.amdhsa_user_sgpr_kernarg_segment_ptr 1
		.amdhsa_user_sgpr_dispatch_id 0
		.amdhsa_user_sgpr_flat_scratch_init 0
		.amdhsa_user_sgpr_kernarg_preload_length 0
		.amdhsa_user_sgpr_kernarg_preload_offset 0
		.amdhsa_user_sgpr_private_segment_size 0
		.amdhsa_uses_dynamic_stack 0
		.amdhsa_system_sgpr_private_segment_wavefront_offset 0
		.amdhsa_system_sgpr_workgroup_id_x 1
		.amdhsa_system_sgpr_workgroup_id_y 0
		.amdhsa_system_sgpr_workgroup_id_z 0
		.amdhsa_system_sgpr_workgroup_info 0
		.amdhsa_system_vgpr_workitem_id 0
		.amdhsa_next_free_vgpr 1
		.amdhsa_next_free_sgpr 0
		.amdhsa_accum_offset 4
		.amdhsa_reserve_vcc 0
		.amdhsa_reserve_flat_scratch 0
		.amdhsa_float_round_mode_32 0
		.amdhsa_float_round_mode_16_64 0
		.amdhsa_float_denorm_mode_32 3
		.amdhsa_float_denorm_mode_16_64 3
		.amdhsa_dx10_clamp 1
		.amdhsa_ieee_mode 1
		.amdhsa_fp16_overflow 0
		.amdhsa_tg_split 0
		.amdhsa_exception_fp_ieee_invalid_op 0
		.amdhsa_exception_fp_denorm_src 0
		.amdhsa_exception_fp_ieee_div_zero 0
		.amdhsa_exception_fp_ieee_overflow 0
		.amdhsa_exception_fp_ieee_underflow 0
		.amdhsa_exception_fp_ieee_inexact 0
		.amdhsa_exception_int_div_zero 0
	.end_amdhsa_kernel
	.section	.text._ZN7rocprim17ROCPRIM_400000_NS6detail17trampoline_kernelINS0_14default_configENS1_22reduce_config_selectorIfEEZNS1_11reduce_implILb1ES3_N6thrust23THRUST_200600_302600_NS11hip_rocprim26transform_input_iterator_tIfNS8_17counting_iteratorIiNS8_11use_defaultESC_SC_EE11estimate_piEEPffNS8_4plusIfEEEE10hipError_tPvRmT1_T2_T3_mT4_P12ihipStream_tbEUlT_E0_NS1_11comp_targetILNS1_3genE9ELNS1_11target_archE1100ELNS1_3gpuE3ELNS1_3repE0EEENS1_30default_config_static_selectorELNS0_4arch9wavefront6targetE1EEEvSM_,"axG",@progbits,_ZN7rocprim17ROCPRIM_400000_NS6detail17trampoline_kernelINS0_14default_configENS1_22reduce_config_selectorIfEEZNS1_11reduce_implILb1ES3_N6thrust23THRUST_200600_302600_NS11hip_rocprim26transform_input_iterator_tIfNS8_17counting_iteratorIiNS8_11use_defaultESC_SC_EE11estimate_piEEPffNS8_4plusIfEEEE10hipError_tPvRmT1_T2_T3_mT4_P12ihipStream_tbEUlT_E0_NS1_11comp_targetILNS1_3genE9ELNS1_11target_archE1100ELNS1_3gpuE3ELNS1_3repE0EEENS1_30default_config_static_selectorELNS0_4arch9wavefront6targetE1EEEvSM_,comdat
.Lfunc_end25:
	.size	_ZN7rocprim17ROCPRIM_400000_NS6detail17trampoline_kernelINS0_14default_configENS1_22reduce_config_selectorIfEEZNS1_11reduce_implILb1ES3_N6thrust23THRUST_200600_302600_NS11hip_rocprim26transform_input_iterator_tIfNS8_17counting_iteratorIiNS8_11use_defaultESC_SC_EE11estimate_piEEPffNS8_4plusIfEEEE10hipError_tPvRmT1_T2_T3_mT4_P12ihipStream_tbEUlT_E0_NS1_11comp_targetILNS1_3genE9ELNS1_11target_archE1100ELNS1_3gpuE3ELNS1_3repE0EEENS1_30default_config_static_selectorELNS0_4arch9wavefront6targetE1EEEvSM_, .Lfunc_end25-_ZN7rocprim17ROCPRIM_400000_NS6detail17trampoline_kernelINS0_14default_configENS1_22reduce_config_selectorIfEEZNS1_11reduce_implILb1ES3_N6thrust23THRUST_200600_302600_NS11hip_rocprim26transform_input_iterator_tIfNS8_17counting_iteratorIiNS8_11use_defaultESC_SC_EE11estimate_piEEPffNS8_4plusIfEEEE10hipError_tPvRmT1_T2_T3_mT4_P12ihipStream_tbEUlT_E0_NS1_11comp_targetILNS1_3genE9ELNS1_11target_archE1100ELNS1_3gpuE3ELNS1_3repE0EEENS1_30default_config_static_selectorELNS0_4arch9wavefront6targetE1EEEvSM_
                                        ; -- End function
	.section	.AMDGPU.csdata,"",@progbits
; Kernel info:
; codeLenInByte = 0
; NumSgprs: 4
; NumVgprs: 0
; NumAgprs: 0
; TotalNumVgprs: 0
; ScratchSize: 0
; MemoryBound: 0
; FloatMode: 240
; IeeeMode: 1
; LDSByteSize: 0 bytes/workgroup (compile time only)
; SGPRBlocks: 0
; VGPRBlocks: 0
; NumSGPRsForWavesPerEU: 4
; NumVGPRsForWavesPerEU: 1
; AccumOffset: 4
; Occupancy: 8
; WaveLimiterHint : 0
; COMPUTE_PGM_RSRC2:SCRATCH_EN: 0
; COMPUTE_PGM_RSRC2:USER_SGPR: 6
; COMPUTE_PGM_RSRC2:TRAP_HANDLER: 0
; COMPUTE_PGM_RSRC2:TGID_X_EN: 1
; COMPUTE_PGM_RSRC2:TGID_Y_EN: 0
; COMPUTE_PGM_RSRC2:TGID_Z_EN: 0
; COMPUTE_PGM_RSRC2:TIDIG_COMP_CNT: 0
; COMPUTE_PGM_RSRC3_GFX90A:ACCUM_OFFSET: 0
; COMPUTE_PGM_RSRC3_GFX90A:TG_SPLIT: 0
	.section	.text._ZN7rocprim17ROCPRIM_400000_NS6detail17trampoline_kernelINS0_14default_configENS1_22reduce_config_selectorIfEEZNS1_11reduce_implILb1ES3_N6thrust23THRUST_200600_302600_NS11hip_rocprim26transform_input_iterator_tIfNS8_17counting_iteratorIiNS8_11use_defaultESC_SC_EE11estimate_piEEPffNS8_4plusIfEEEE10hipError_tPvRmT1_T2_T3_mT4_P12ihipStream_tbEUlT_E0_NS1_11comp_targetILNS1_3genE8ELNS1_11target_archE1030ELNS1_3gpuE2ELNS1_3repE0EEENS1_30default_config_static_selectorELNS0_4arch9wavefront6targetE1EEEvSM_,"axG",@progbits,_ZN7rocprim17ROCPRIM_400000_NS6detail17trampoline_kernelINS0_14default_configENS1_22reduce_config_selectorIfEEZNS1_11reduce_implILb1ES3_N6thrust23THRUST_200600_302600_NS11hip_rocprim26transform_input_iterator_tIfNS8_17counting_iteratorIiNS8_11use_defaultESC_SC_EE11estimate_piEEPffNS8_4plusIfEEEE10hipError_tPvRmT1_T2_T3_mT4_P12ihipStream_tbEUlT_E0_NS1_11comp_targetILNS1_3genE8ELNS1_11target_archE1030ELNS1_3gpuE2ELNS1_3repE0EEENS1_30default_config_static_selectorELNS0_4arch9wavefront6targetE1EEEvSM_,comdat
	.protected	_ZN7rocprim17ROCPRIM_400000_NS6detail17trampoline_kernelINS0_14default_configENS1_22reduce_config_selectorIfEEZNS1_11reduce_implILb1ES3_N6thrust23THRUST_200600_302600_NS11hip_rocprim26transform_input_iterator_tIfNS8_17counting_iteratorIiNS8_11use_defaultESC_SC_EE11estimate_piEEPffNS8_4plusIfEEEE10hipError_tPvRmT1_T2_T3_mT4_P12ihipStream_tbEUlT_E0_NS1_11comp_targetILNS1_3genE8ELNS1_11target_archE1030ELNS1_3gpuE2ELNS1_3repE0EEENS1_30default_config_static_selectorELNS0_4arch9wavefront6targetE1EEEvSM_ ; -- Begin function _ZN7rocprim17ROCPRIM_400000_NS6detail17trampoline_kernelINS0_14default_configENS1_22reduce_config_selectorIfEEZNS1_11reduce_implILb1ES3_N6thrust23THRUST_200600_302600_NS11hip_rocprim26transform_input_iterator_tIfNS8_17counting_iteratorIiNS8_11use_defaultESC_SC_EE11estimate_piEEPffNS8_4plusIfEEEE10hipError_tPvRmT1_T2_T3_mT4_P12ihipStream_tbEUlT_E0_NS1_11comp_targetILNS1_3genE8ELNS1_11target_archE1030ELNS1_3gpuE2ELNS1_3repE0EEENS1_30default_config_static_selectorELNS0_4arch9wavefront6targetE1EEEvSM_
	.globl	_ZN7rocprim17ROCPRIM_400000_NS6detail17trampoline_kernelINS0_14default_configENS1_22reduce_config_selectorIfEEZNS1_11reduce_implILb1ES3_N6thrust23THRUST_200600_302600_NS11hip_rocprim26transform_input_iterator_tIfNS8_17counting_iteratorIiNS8_11use_defaultESC_SC_EE11estimate_piEEPffNS8_4plusIfEEEE10hipError_tPvRmT1_T2_T3_mT4_P12ihipStream_tbEUlT_E0_NS1_11comp_targetILNS1_3genE8ELNS1_11target_archE1030ELNS1_3gpuE2ELNS1_3repE0EEENS1_30default_config_static_selectorELNS0_4arch9wavefront6targetE1EEEvSM_
	.p2align	8
	.type	_ZN7rocprim17ROCPRIM_400000_NS6detail17trampoline_kernelINS0_14default_configENS1_22reduce_config_selectorIfEEZNS1_11reduce_implILb1ES3_N6thrust23THRUST_200600_302600_NS11hip_rocprim26transform_input_iterator_tIfNS8_17counting_iteratorIiNS8_11use_defaultESC_SC_EE11estimate_piEEPffNS8_4plusIfEEEE10hipError_tPvRmT1_T2_T3_mT4_P12ihipStream_tbEUlT_E0_NS1_11comp_targetILNS1_3genE8ELNS1_11target_archE1030ELNS1_3gpuE2ELNS1_3repE0EEENS1_30default_config_static_selectorELNS0_4arch9wavefront6targetE1EEEvSM_,@function
_ZN7rocprim17ROCPRIM_400000_NS6detail17trampoline_kernelINS0_14default_configENS1_22reduce_config_selectorIfEEZNS1_11reduce_implILb1ES3_N6thrust23THRUST_200600_302600_NS11hip_rocprim26transform_input_iterator_tIfNS8_17counting_iteratorIiNS8_11use_defaultESC_SC_EE11estimate_piEEPffNS8_4plusIfEEEE10hipError_tPvRmT1_T2_T3_mT4_P12ihipStream_tbEUlT_E0_NS1_11comp_targetILNS1_3genE8ELNS1_11target_archE1030ELNS1_3gpuE2ELNS1_3repE0EEENS1_30default_config_static_selectorELNS0_4arch9wavefront6targetE1EEEvSM_: ; @_ZN7rocprim17ROCPRIM_400000_NS6detail17trampoline_kernelINS0_14default_configENS1_22reduce_config_selectorIfEEZNS1_11reduce_implILb1ES3_N6thrust23THRUST_200600_302600_NS11hip_rocprim26transform_input_iterator_tIfNS8_17counting_iteratorIiNS8_11use_defaultESC_SC_EE11estimate_piEEPffNS8_4plusIfEEEE10hipError_tPvRmT1_T2_T3_mT4_P12ihipStream_tbEUlT_E0_NS1_11comp_targetILNS1_3genE8ELNS1_11target_archE1030ELNS1_3gpuE2ELNS1_3repE0EEENS1_30default_config_static_selectorELNS0_4arch9wavefront6targetE1EEEvSM_
; %bb.0:
	.section	.rodata,"a",@progbits
	.p2align	6, 0x0
	.amdhsa_kernel _ZN7rocprim17ROCPRIM_400000_NS6detail17trampoline_kernelINS0_14default_configENS1_22reduce_config_selectorIfEEZNS1_11reduce_implILb1ES3_N6thrust23THRUST_200600_302600_NS11hip_rocprim26transform_input_iterator_tIfNS8_17counting_iteratorIiNS8_11use_defaultESC_SC_EE11estimate_piEEPffNS8_4plusIfEEEE10hipError_tPvRmT1_T2_T3_mT4_P12ihipStream_tbEUlT_E0_NS1_11comp_targetILNS1_3genE8ELNS1_11target_archE1030ELNS1_3gpuE2ELNS1_3repE0EEENS1_30default_config_static_selectorELNS0_4arch9wavefront6targetE1EEEvSM_
		.amdhsa_group_segment_fixed_size 0
		.amdhsa_private_segment_fixed_size 0
		.amdhsa_kernarg_size 56
		.amdhsa_user_sgpr_count 6
		.amdhsa_user_sgpr_private_segment_buffer 1
		.amdhsa_user_sgpr_dispatch_ptr 0
		.amdhsa_user_sgpr_queue_ptr 0
		.amdhsa_user_sgpr_kernarg_segment_ptr 1
		.amdhsa_user_sgpr_dispatch_id 0
		.amdhsa_user_sgpr_flat_scratch_init 0
		.amdhsa_user_sgpr_kernarg_preload_length 0
		.amdhsa_user_sgpr_kernarg_preload_offset 0
		.amdhsa_user_sgpr_private_segment_size 0
		.amdhsa_uses_dynamic_stack 0
		.amdhsa_system_sgpr_private_segment_wavefront_offset 0
		.amdhsa_system_sgpr_workgroup_id_x 1
		.amdhsa_system_sgpr_workgroup_id_y 0
		.amdhsa_system_sgpr_workgroup_id_z 0
		.amdhsa_system_sgpr_workgroup_info 0
		.amdhsa_system_vgpr_workitem_id 0
		.amdhsa_next_free_vgpr 1
		.amdhsa_next_free_sgpr 0
		.amdhsa_accum_offset 4
		.amdhsa_reserve_vcc 0
		.amdhsa_reserve_flat_scratch 0
		.amdhsa_float_round_mode_32 0
		.amdhsa_float_round_mode_16_64 0
		.amdhsa_float_denorm_mode_32 3
		.amdhsa_float_denorm_mode_16_64 3
		.amdhsa_dx10_clamp 1
		.amdhsa_ieee_mode 1
		.amdhsa_fp16_overflow 0
		.amdhsa_tg_split 0
		.amdhsa_exception_fp_ieee_invalid_op 0
		.amdhsa_exception_fp_denorm_src 0
		.amdhsa_exception_fp_ieee_div_zero 0
		.amdhsa_exception_fp_ieee_overflow 0
		.amdhsa_exception_fp_ieee_underflow 0
		.amdhsa_exception_fp_ieee_inexact 0
		.amdhsa_exception_int_div_zero 0
	.end_amdhsa_kernel
	.section	.text._ZN7rocprim17ROCPRIM_400000_NS6detail17trampoline_kernelINS0_14default_configENS1_22reduce_config_selectorIfEEZNS1_11reduce_implILb1ES3_N6thrust23THRUST_200600_302600_NS11hip_rocprim26transform_input_iterator_tIfNS8_17counting_iteratorIiNS8_11use_defaultESC_SC_EE11estimate_piEEPffNS8_4plusIfEEEE10hipError_tPvRmT1_T2_T3_mT4_P12ihipStream_tbEUlT_E0_NS1_11comp_targetILNS1_3genE8ELNS1_11target_archE1030ELNS1_3gpuE2ELNS1_3repE0EEENS1_30default_config_static_selectorELNS0_4arch9wavefront6targetE1EEEvSM_,"axG",@progbits,_ZN7rocprim17ROCPRIM_400000_NS6detail17trampoline_kernelINS0_14default_configENS1_22reduce_config_selectorIfEEZNS1_11reduce_implILb1ES3_N6thrust23THRUST_200600_302600_NS11hip_rocprim26transform_input_iterator_tIfNS8_17counting_iteratorIiNS8_11use_defaultESC_SC_EE11estimate_piEEPffNS8_4plusIfEEEE10hipError_tPvRmT1_T2_T3_mT4_P12ihipStream_tbEUlT_E0_NS1_11comp_targetILNS1_3genE8ELNS1_11target_archE1030ELNS1_3gpuE2ELNS1_3repE0EEENS1_30default_config_static_selectorELNS0_4arch9wavefront6targetE1EEEvSM_,comdat
.Lfunc_end26:
	.size	_ZN7rocprim17ROCPRIM_400000_NS6detail17trampoline_kernelINS0_14default_configENS1_22reduce_config_selectorIfEEZNS1_11reduce_implILb1ES3_N6thrust23THRUST_200600_302600_NS11hip_rocprim26transform_input_iterator_tIfNS8_17counting_iteratorIiNS8_11use_defaultESC_SC_EE11estimate_piEEPffNS8_4plusIfEEEE10hipError_tPvRmT1_T2_T3_mT4_P12ihipStream_tbEUlT_E0_NS1_11comp_targetILNS1_3genE8ELNS1_11target_archE1030ELNS1_3gpuE2ELNS1_3repE0EEENS1_30default_config_static_selectorELNS0_4arch9wavefront6targetE1EEEvSM_, .Lfunc_end26-_ZN7rocprim17ROCPRIM_400000_NS6detail17trampoline_kernelINS0_14default_configENS1_22reduce_config_selectorIfEEZNS1_11reduce_implILb1ES3_N6thrust23THRUST_200600_302600_NS11hip_rocprim26transform_input_iterator_tIfNS8_17counting_iteratorIiNS8_11use_defaultESC_SC_EE11estimate_piEEPffNS8_4plusIfEEEE10hipError_tPvRmT1_T2_T3_mT4_P12ihipStream_tbEUlT_E0_NS1_11comp_targetILNS1_3genE8ELNS1_11target_archE1030ELNS1_3gpuE2ELNS1_3repE0EEENS1_30default_config_static_selectorELNS0_4arch9wavefront6targetE1EEEvSM_
                                        ; -- End function
	.section	.AMDGPU.csdata,"",@progbits
; Kernel info:
; codeLenInByte = 0
; NumSgprs: 4
; NumVgprs: 0
; NumAgprs: 0
; TotalNumVgprs: 0
; ScratchSize: 0
; MemoryBound: 0
; FloatMode: 240
; IeeeMode: 1
; LDSByteSize: 0 bytes/workgroup (compile time only)
; SGPRBlocks: 0
; VGPRBlocks: 0
; NumSGPRsForWavesPerEU: 4
; NumVGPRsForWavesPerEU: 1
; AccumOffset: 4
; Occupancy: 8
; WaveLimiterHint : 0
; COMPUTE_PGM_RSRC2:SCRATCH_EN: 0
; COMPUTE_PGM_RSRC2:USER_SGPR: 6
; COMPUTE_PGM_RSRC2:TRAP_HANDLER: 0
; COMPUTE_PGM_RSRC2:TGID_X_EN: 1
; COMPUTE_PGM_RSRC2:TGID_Y_EN: 0
; COMPUTE_PGM_RSRC2:TGID_Z_EN: 0
; COMPUTE_PGM_RSRC2:TIDIG_COMP_CNT: 0
; COMPUTE_PGM_RSRC3_GFX90A:ACCUM_OFFSET: 0
; COMPUTE_PGM_RSRC3_GFX90A:TG_SPLIT: 0
	.section	.text._ZN7rocprim17ROCPRIM_400000_NS6detail17trampoline_kernelINS0_14default_configENS1_22reduce_config_selectorIfEEZNS1_11reduce_implILb1ES3_N6thrust23THRUST_200600_302600_NS11hip_rocprim26transform_input_iterator_tIfNS8_17counting_iteratorIiNS8_11use_defaultESC_SC_EE11estimate_piEEPffNS8_4plusIfEEEE10hipError_tPvRmT1_T2_T3_mT4_P12ihipStream_tbEUlT_E1_NS1_11comp_targetILNS1_3genE0ELNS1_11target_archE4294967295ELNS1_3gpuE0ELNS1_3repE0EEENS1_30default_config_static_selectorELNS0_4arch9wavefront6targetE1EEEvSM_,"axG",@progbits,_ZN7rocprim17ROCPRIM_400000_NS6detail17trampoline_kernelINS0_14default_configENS1_22reduce_config_selectorIfEEZNS1_11reduce_implILb1ES3_N6thrust23THRUST_200600_302600_NS11hip_rocprim26transform_input_iterator_tIfNS8_17counting_iteratorIiNS8_11use_defaultESC_SC_EE11estimate_piEEPffNS8_4plusIfEEEE10hipError_tPvRmT1_T2_T3_mT4_P12ihipStream_tbEUlT_E1_NS1_11comp_targetILNS1_3genE0ELNS1_11target_archE4294967295ELNS1_3gpuE0ELNS1_3repE0EEENS1_30default_config_static_selectorELNS0_4arch9wavefront6targetE1EEEvSM_,comdat
	.protected	_ZN7rocprim17ROCPRIM_400000_NS6detail17trampoline_kernelINS0_14default_configENS1_22reduce_config_selectorIfEEZNS1_11reduce_implILb1ES3_N6thrust23THRUST_200600_302600_NS11hip_rocprim26transform_input_iterator_tIfNS8_17counting_iteratorIiNS8_11use_defaultESC_SC_EE11estimate_piEEPffNS8_4plusIfEEEE10hipError_tPvRmT1_T2_T3_mT4_P12ihipStream_tbEUlT_E1_NS1_11comp_targetILNS1_3genE0ELNS1_11target_archE4294967295ELNS1_3gpuE0ELNS1_3repE0EEENS1_30default_config_static_selectorELNS0_4arch9wavefront6targetE1EEEvSM_ ; -- Begin function _ZN7rocprim17ROCPRIM_400000_NS6detail17trampoline_kernelINS0_14default_configENS1_22reduce_config_selectorIfEEZNS1_11reduce_implILb1ES3_N6thrust23THRUST_200600_302600_NS11hip_rocprim26transform_input_iterator_tIfNS8_17counting_iteratorIiNS8_11use_defaultESC_SC_EE11estimate_piEEPffNS8_4plusIfEEEE10hipError_tPvRmT1_T2_T3_mT4_P12ihipStream_tbEUlT_E1_NS1_11comp_targetILNS1_3genE0ELNS1_11target_archE4294967295ELNS1_3gpuE0ELNS1_3repE0EEENS1_30default_config_static_selectorELNS0_4arch9wavefront6targetE1EEEvSM_
	.globl	_ZN7rocprim17ROCPRIM_400000_NS6detail17trampoline_kernelINS0_14default_configENS1_22reduce_config_selectorIfEEZNS1_11reduce_implILb1ES3_N6thrust23THRUST_200600_302600_NS11hip_rocprim26transform_input_iterator_tIfNS8_17counting_iteratorIiNS8_11use_defaultESC_SC_EE11estimate_piEEPffNS8_4plusIfEEEE10hipError_tPvRmT1_T2_T3_mT4_P12ihipStream_tbEUlT_E1_NS1_11comp_targetILNS1_3genE0ELNS1_11target_archE4294967295ELNS1_3gpuE0ELNS1_3repE0EEENS1_30default_config_static_selectorELNS0_4arch9wavefront6targetE1EEEvSM_
	.p2align	8
	.type	_ZN7rocprim17ROCPRIM_400000_NS6detail17trampoline_kernelINS0_14default_configENS1_22reduce_config_selectorIfEEZNS1_11reduce_implILb1ES3_N6thrust23THRUST_200600_302600_NS11hip_rocprim26transform_input_iterator_tIfNS8_17counting_iteratorIiNS8_11use_defaultESC_SC_EE11estimate_piEEPffNS8_4plusIfEEEE10hipError_tPvRmT1_T2_T3_mT4_P12ihipStream_tbEUlT_E1_NS1_11comp_targetILNS1_3genE0ELNS1_11target_archE4294967295ELNS1_3gpuE0ELNS1_3repE0EEENS1_30default_config_static_selectorELNS0_4arch9wavefront6targetE1EEEvSM_,@function
_ZN7rocprim17ROCPRIM_400000_NS6detail17trampoline_kernelINS0_14default_configENS1_22reduce_config_selectorIfEEZNS1_11reduce_implILb1ES3_N6thrust23THRUST_200600_302600_NS11hip_rocprim26transform_input_iterator_tIfNS8_17counting_iteratorIiNS8_11use_defaultESC_SC_EE11estimate_piEEPffNS8_4plusIfEEEE10hipError_tPvRmT1_T2_T3_mT4_P12ihipStream_tbEUlT_E1_NS1_11comp_targetILNS1_3genE0ELNS1_11target_archE4294967295ELNS1_3gpuE0ELNS1_3repE0EEENS1_30default_config_static_selectorELNS0_4arch9wavefront6targetE1EEEvSM_: ; @_ZN7rocprim17ROCPRIM_400000_NS6detail17trampoline_kernelINS0_14default_configENS1_22reduce_config_selectorIfEEZNS1_11reduce_implILb1ES3_N6thrust23THRUST_200600_302600_NS11hip_rocprim26transform_input_iterator_tIfNS8_17counting_iteratorIiNS8_11use_defaultESC_SC_EE11estimate_piEEPffNS8_4plusIfEEEE10hipError_tPvRmT1_T2_T3_mT4_P12ihipStream_tbEUlT_E1_NS1_11comp_targetILNS1_3genE0ELNS1_11target_archE4294967295ELNS1_3gpuE0ELNS1_3repE0EEENS1_30default_config_static_selectorELNS0_4arch9wavefront6targetE1EEEvSM_
; %bb.0:
	.section	.rodata,"a",@progbits
	.p2align	6, 0x0
	.amdhsa_kernel _ZN7rocprim17ROCPRIM_400000_NS6detail17trampoline_kernelINS0_14default_configENS1_22reduce_config_selectorIfEEZNS1_11reduce_implILb1ES3_N6thrust23THRUST_200600_302600_NS11hip_rocprim26transform_input_iterator_tIfNS8_17counting_iteratorIiNS8_11use_defaultESC_SC_EE11estimate_piEEPffNS8_4plusIfEEEE10hipError_tPvRmT1_T2_T3_mT4_P12ihipStream_tbEUlT_E1_NS1_11comp_targetILNS1_3genE0ELNS1_11target_archE4294967295ELNS1_3gpuE0ELNS1_3repE0EEENS1_30default_config_static_selectorELNS0_4arch9wavefront6targetE1EEEvSM_
		.amdhsa_group_segment_fixed_size 0
		.amdhsa_private_segment_fixed_size 0
		.amdhsa_kernarg_size 40
		.amdhsa_user_sgpr_count 6
		.amdhsa_user_sgpr_private_segment_buffer 1
		.amdhsa_user_sgpr_dispatch_ptr 0
		.amdhsa_user_sgpr_queue_ptr 0
		.amdhsa_user_sgpr_kernarg_segment_ptr 1
		.amdhsa_user_sgpr_dispatch_id 0
		.amdhsa_user_sgpr_flat_scratch_init 0
		.amdhsa_user_sgpr_kernarg_preload_length 0
		.amdhsa_user_sgpr_kernarg_preload_offset 0
		.amdhsa_user_sgpr_private_segment_size 0
		.amdhsa_uses_dynamic_stack 0
		.amdhsa_system_sgpr_private_segment_wavefront_offset 0
		.amdhsa_system_sgpr_workgroup_id_x 1
		.amdhsa_system_sgpr_workgroup_id_y 0
		.amdhsa_system_sgpr_workgroup_id_z 0
		.amdhsa_system_sgpr_workgroup_info 0
		.amdhsa_system_vgpr_workitem_id 0
		.amdhsa_next_free_vgpr 1
		.amdhsa_next_free_sgpr 0
		.amdhsa_accum_offset 4
		.amdhsa_reserve_vcc 0
		.amdhsa_reserve_flat_scratch 0
		.amdhsa_float_round_mode_32 0
		.amdhsa_float_round_mode_16_64 0
		.amdhsa_float_denorm_mode_32 3
		.amdhsa_float_denorm_mode_16_64 3
		.amdhsa_dx10_clamp 1
		.amdhsa_ieee_mode 1
		.amdhsa_fp16_overflow 0
		.amdhsa_tg_split 0
		.amdhsa_exception_fp_ieee_invalid_op 0
		.amdhsa_exception_fp_denorm_src 0
		.amdhsa_exception_fp_ieee_div_zero 0
		.amdhsa_exception_fp_ieee_overflow 0
		.amdhsa_exception_fp_ieee_underflow 0
		.amdhsa_exception_fp_ieee_inexact 0
		.amdhsa_exception_int_div_zero 0
	.end_amdhsa_kernel
	.section	.text._ZN7rocprim17ROCPRIM_400000_NS6detail17trampoline_kernelINS0_14default_configENS1_22reduce_config_selectorIfEEZNS1_11reduce_implILb1ES3_N6thrust23THRUST_200600_302600_NS11hip_rocprim26transform_input_iterator_tIfNS8_17counting_iteratorIiNS8_11use_defaultESC_SC_EE11estimate_piEEPffNS8_4plusIfEEEE10hipError_tPvRmT1_T2_T3_mT4_P12ihipStream_tbEUlT_E1_NS1_11comp_targetILNS1_3genE0ELNS1_11target_archE4294967295ELNS1_3gpuE0ELNS1_3repE0EEENS1_30default_config_static_selectorELNS0_4arch9wavefront6targetE1EEEvSM_,"axG",@progbits,_ZN7rocprim17ROCPRIM_400000_NS6detail17trampoline_kernelINS0_14default_configENS1_22reduce_config_selectorIfEEZNS1_11reduce_implILb1ES3_N6thrust23THRUST_200600_302600_NS11hip_rocprim26transform_input_iterator_tIfNS8_17counting_iteratorIiNS8_11use_defaultESC_SC_EE11estimate_piEEPffNS8_4plusIfEEEE10hipError_tPvRmT1_T2_T3_mT4_P12ihipStream_tbEUlT_E1_NS1_11comp_targetILNS1_3genE0ELNS1_11target_archE4294967295ELNS1_3gpuE0ELNS1_3repE0EEENS1_30default_config_static_selectorELNS0_4arch9wavefront6targetE1EEEvSM_,comdat
.Lfunc_end27:
	.size	_ZN7rocprim17ROCPRIM_400000_NS6detail17trampoline_kernelINS0_14default_configENS1_22reduce_config_selectorIfEEZNS1_11reduce_implILb1ES3_N6thrust23THRUST_200600_302600_NS11hip_rocprim26transform_input_iterator_tIfNS8_17counting_iteratorIiNS8_11use_defaultESC_SC_EE11estimate_piEEPffNS8_4plusIfEEEE10hipError_tPvRmT1_T2_T3_mT4_P12ihipStream_tbEUlT_E1_NS1_11comp_targetILNS1_3genE0ELNS1_11target_archE4294967295ELNS1_3gpuE0ELNS1_3repE0EEENS1_30default_config_static_selectorELNS0_4arch9wavefront6targetE1EEEvSM_, .Lfunc_end27-_ZN7rocprim17ROCPRIM_400000_NS6detail17trampoline_kernelINS0_14default_configENS1_22reduce_config_selectorIfEEZNS1_11reduce_implILb1ES3_N6thrust23THRUST_200600_302600_NS11hip_rocprim26transform_input_iterator_tIfNS8_17counting_iteratorIiNS8_11use_defaultESC_SC_EE11estimate_piEEPffNS8_4plusIfEEEE10hipError_tPvRmT1_T2_T3_mT4_P12ihipStream_tbEUlT_E1_NS1_11comp_targetILNS1_3genE0ELNS1_11target_archE4294967295ELNS1_3gpuE0ELNS1_3repE0EEENS1_30default_config_static_selectorELNS0_4arch9wavefront6targetE1EEEvSM_
                                        ; -- End function
	.section	.AMDGPU.csdata,"",@progbits
; Kernel info:
; codeLenInByte = 0
; NumSgprs: 4
; NumVgprs: 0
; NumAgprs: 0
; TotalNumVgprs: 0
; ScratchSize: 0
; MemoryBound: 0
; FloatMode: 240
; IeeeMode: 1
; LDSByteSize: 0 bytes/workgroup (compile time only)
; SGPRBlocks: 0
; VGPRBlocks: 0
; NumSGPRsForWavesPerEU: 4
; NumVGPRsForWavesPerEU: 1
; AccumOffset: 4
; Occupancy: 8
; WaveLimiterHint : 0
; COMPUTE_PGM_RSRC2:SCRATCH_EN: 0
; COMPUTE_PGM_RSRC2:USER_SGPR: 6
; COMPUTE_PGM_RSRC2:TRAP_HANDLER: 0
; COMPUTE_PGM_RSRC2:TGID_X_EN: 1
; COMPUTE_PGM_RSRC2:TGID_Y_EN: 0
; COMPUTE_PGM_RSRC2:TGID_Z_EN: 0
; COMPUTE_PGM_RSRC2:TIDIG_COMP_CNT: 0
; COMPUTE_PGM_RSRC3_GFX90A:ACCUM_OFFSET: 0
; COMPUTE_PGM_RSRC3_GFX90A:TG_SPLIT: 0
	.section	.text._ZN7rocprim17ROCPRIM_400000_NS6detail17trampoline_kernelINS0_14default_configENS1_22reduce_config_selectorIfEEZNS1_11reduce_implILb1ES3_N6thrust23THRUST_200600_302600_NS11hip_rocprim26transform_input_iterator_tIfNS8_17counting_iteratorIiNS8_11use_defaultESC_SC_EE11estimate_piEEPffNS8_4plusIfEEEE10hipError_tPvRmT1_T2_T3_mT4_P12ihipStream_tbEUlT_E1_NS1_11comp_targetILNS1_3genE5ELNS1_11target_archE942ELNS1_3gpuE9ELNS1_3repE0EEENS1_30default_config_static_selectorELNS0_4arch9wavefront6targetE1EEEvSM_,"axG",@progbits,_ZN7rocprim17ROCPRIM_400000_NS6detail17trampoline_kernelINS0_14default_configENS1_22reduce_config_selectorIfEEZNS1_11reduce_implILb1ES3_N6thrust23THRUST_200600_302600_NS11hip_rocprim26transform_input_iterator_tIfNS8_17counting_iteratorIiNS8_11use_defaultESC_SC_EE11estimate_piEEPffNS8_4plusIfEEEE10hipError_tPvRmT1_T2_T3_mT4_P12ihipStream_tbEUlT_E1_NS1_11comp_targetILNS1_3genE5ELNS1_11target_archE942ELNS1_3gpuE9ELNS1_3repE0EEENS1_30default_config_static_selectorELNS0_4arch9wavefront6targetE1EEEvSM_,comdat
	.protected	_ZN7rocprim17ROCPRIM_400000_NS6detail17trampoline_kernelINS0_14default_configENS1_22reduce_config_selectorIfEEZNS1_11reduce_implILb1ES3_N6thrust23THRUST_200600_302600_NS11hip_rocprim26transform_input_iterator_tIfNS8_17counting_iteratorIiNS8_11use_defaultESC_SC_EE11estimate_piEEPffNS8_4plusIfEEEE10hipError_tPvRmT1_T2_T3_mT4_P12ihipStream_tbEUlT_E1_NS1_11comp_targetILNS1_3genE5ELNS1_11target_archE942ELNS1_3gpuE9ELNS1_3repE0EEENS1_30default_config_static_selectorELNS0_4arch9wavefront6targetE1EEEvSM_ ; -- Begin function _ZN7rocprim17ROCPRIM_400000_NS6detail17trampoline_kernelINS0_14default_configENS1_22reduce_config_selectorIfEEZNS1_11reduce_implILb1ES3_N6thrust23THRUST_200600_302600_NS11hip_rocprim26transform_input_iterator_tIfNS8_17counting_iteratorIiNS8_11use_defaultESC_SC_EE11estimate_piEEPffNS8_4plusIfEEEE10hipError_tPvRmT1_T2_T3_mT4_P12ihipStream_tbEUlT_E1_NS1_11comp_targetILNS1_3genE5ELNS1_11target_archE942ELNS1_3gpuE9ELNS1_3repE0EEENS1_30default_config_static_selectorELNS0_4arch9wavefront6targetE1EEEvSM_
	.globl	_ZN7rocprim17ROCPRIM_400000_NS6detail17trampoline_kernelINS0_14default_configENS1_22reduce_config_selectorIfEEZNS1_11reduce_implILb1ES3_N6thrust23THRUST_200600_302600_NS11hip_rocprim26transform_input_iterator_tIfNS8_17counting_iteratorIiNS8_11use_defaultESC_SC_EE11estimate_piEEPffNS8_4plusIfEEEE10hipError_tPvRmT1_T2_T3_mT4_P12ihipStream_tbEUlT_E1_NS1_11comp_targetILNS1_3genE5ELNS1_11target_archE942ELNS1_3gpuE9ELNS1_3repE0EEENS1_30default_config_static_selectorELNS0_4arch9wavefront6targetE1EEEvSM_
	.p2align	8
	.type	_ZN7rocprim17ROCPRIM_400000_NS6detail17trampoline_kernelINS0_14default_configENS1_22reduce_config_selectorIfEEZNS1_11reduce_implILb1ES3_N6thrust23THRUST_200600_302600_NS11hip_rocprim26transform_input_iterator_tIfNS8_17counting_iteratorIiNS8_11use_defaultESC_SC_EE11estimate_piEEPffNS8_4plusIfEEEE10hipError_tPvRmT1_T2_T3_mT4_P12ihipStream_tbEUlT_E1_NS1_11comp_targetILNS1_3genE5ELNS1_11target_archE942ELNS1_3gpuE9ELNS1_3repE0EEENS1_30default_config_static_selectorELNS0_4arch9wavefront6targetE1EEEvSM_,@function
_ZN7rocprim17ROCPRIM_400000_NS6detail17trampoline_kernelINS0_14default_configENS1_22reduce_config_selectorIfEEZNS1_11reduce_implILb1ES3_N6thrust23THRUST_200600_302600_NS11hip_rocprim26transform_input_iterator_tIfNS8_17counting_iteratorIiNS8_11use_defaultESC_SC_EE11estimate_piEEPffNS8_4plusIfEEEE10hipError_tPvRmT1_T2_T3_mT4_P12ihipStream_tbEUlT_E1_NS1_11comp_targetILNS1_3genE5ELNS1_11target_archE942ELNS1_3gpuE9ELNS1_3repE0EEENS1_30default_config_static_selectorELNS0_4arch9wavefront6targetE1EEEvSM_: ; @_ZN7rocprim17ROCPRIM_400000_NS6detail17trampoline_kernelINS0_14default_configENS1_22reduce_config_selectorIfEEZNS1_11reduce_implILb1ES3_N6thrust23THRUST_200600_302600_NS11hip_rocprim26transform_input_iterator_tIfNS8_17counting_iteratorIiNS8_11use_defaultESC_SC_EE11estimate_piEEPffNS8_4plusIfEEEE10hipError_tPvRmT1_T2_T3_mT4_P12ihipStream_tbEUlT_E1_NS1_11comp_targetILNS1_3genE5ELNS1_11target_archE942ELNS1_3gpuE9ELNS1_3repE0EEENS1_30default_config_static_selectorELNS0_4arch9wavefront6targetE1EEEvSM_
; %bb.0:
	.section	.rodata,"a",@progbits
	.p2align	6, 0x0
	.amdhsa_kernel _ZN7rocprim17ROCPRIM_400000_NS6detail17trampoline_kernelINS0_14default_configENS1_22reduce_config_selectorIfEEZNS1_11reduce_implILb1ES3_N6thrust23THRUST_200600_302600_NS11hip_rocprim26transform_input_iterator_tIfNS8_17counting_iteratorIiNS8_11use_defaultESC_SC_EE11estimate_piEEPffNS8_4plusIfEEEE10hipError_tPvRmT1_T2_T3_mT4_P12ihipStream_tbEUlT_E1_NS1_11comp_targetILNS1_3genE5ELNS1_11target_archE942ELNS1_3gpuE9ELNS1_3repE0EEENS1_30default_config_static_selectorELNS0_4arch9wavefront6targetE1EEEvSM_
		.amdhsa_group_segment_fixed_size 0
		.amdhsa_private_segment_fixed_size 0
		.amdhsa_kernarg_size 40
		.amdhsa_user_sgpr_count 6
		.amdhsa_user_sgpr_private_segment_buffer 1
		.amdhsa_user_sgpr_dispatch_ptr 0
		.amdhsa_user_sgpr_queue_ptr 0
		.amdhsa_user_sgpr_kernarg_segment_ptr 1
		.amdhsa_user_sgpr_dispatch_id 0
		.amdhsa_user_sgpr_flat_scratch_init 0
		.amdhsa_user_sgpr_kernarg_preload_length 0
		.amdhsa_user_sgpr_kernarg_preload_offset 0
		.amdhsa_user_sgpr_private_segment_size 0
		.amdhsa_uses_dynamic_stack 0
		.amdhsa_system_sgpr_private_segment_wavefront_offset 0
		.amdhsa_system_sgpr_workgroup_id_x 1
		.amdhsa_system_sgpr_workgroup_id_y 0
		.amdhsa_system_sgpr_workgroup_id_z 0
		.amdhsa_system_sgpr_workgroup_info 0
		.amdhsa_system_vgpr_workitem_id 0
		.amdhsa_next_free_vgpr 1
		.amdhsa_next_free_sgpr 0
		.amdhsa_accum_offset 4
		.amdhsa_reserve_vcc 0
		.amdhsa_reserve_flat_scratch 0
		.amdhsa_float_round_mode_32 0
		.amdhsa_float_round_mode_16_64 0
		.amdhsa_float_denorm_mode_32 3
		.amdhsa_float_denorm_mode_16_64 3
		.amdhsa_dx10_clamp 1
		.amdhsa_ieee_mode 1
		.amdhsa_fp16_overflow 0
		.amdhsa_tg_split 0
		.amdhsa_exception_fp_ieee_invalid_op 0
		.amdhsa_exception_fp_denorm_src 0
		.amdhsa_exception_fp_ieee_div_zero 0
		.amdhsa_exception_fp_ieee_overflow 0
		.amdhsa_exception_fp_ieee_underflow 0
		.amdhsa_exception_fp_ieee_inexact 0
		.amdhsa_exception_int_div_zero 0
	.end_amdhsa_kernel
	.section	.text._ZN7rocprim17ROCPRIM_400000_NS6detail17trampoline_kernelINS0_14default_configENS1_22reduce_config_selectorIfEEZNS1_11reduce_implILb1ES3_N6thrust23THRUST_200600_302600_NS11hip_rocprim26transform_input_iterator_tIfNS8_17counting_iteratorIiNS8_11use_defaultESC_SC_EE11estimate_piEEPffNS8_4plusIfEEEE10hipError_tPvRmT1_T2_T3_mT4_P12ihipStream_tbEUlT_E1_NS1_11comp_targetILNS1_3genE5ELNS1_11target_archE942ELNS1_3gpuE9ELNS1_3repE0EEENS1_30default_config_static_selectorELNS0_4arch9wavefront6targetE1EEEvSM_,"axG",@progbits,_ZN7rocprim17ROCPRIM_400000_NS6detail17trampoline_kernelINS0_14default_configENS1_22reduce_config_selectorIfEEZNS1_11reduce_implILb1ES3_N6thrust23THRUST_200600_302600_NS11hip_rocprim26transform_input_iterator_tIfNS8_17counting_iteratorIiNS8_11use_defaultESC_SC_EE11estimate_piEEPffNS8_4plusIfEEEE10hipError_tPvRmT1_T2_T3_mT4_P12ihipStream_tbEUlT_E1_NS1_11comp_targetILNS1_3genE5ELNS1_11target_archE942ELNS1_3gpuE9ELNS1_3repE0EEENS1_30default_config_static_selectorELNS0_4arch9wavefront6targetE1EEEvSM_,comdat
.Lfunc_end28:
	.size	_ZN7rocprim17ROCPRIM_400000_NS6detail17trampoline_kernelINS0_14default_configENS1_22reduce_config_selectorIfEEZNS1_11reduce_implILb1ES3_N6thrust23THRUST_200600_302600_NS11hip_rocprim26transform_input_iterator_tIfNS8_17counting_iteratorIiNS8_11use_defaultESC_SC_EE11estimate_piEEPffNS8_4plusIfEEEE10hipError_tPvRmT1_T2_T3_mT4_P12ihipStream_tbEUlT_E1_NS1_11comp_targetILNS1_3genE5ELNS1_11target_archE942ELNS1_3gpuE9ELNS1_3repE0EEENS1_30default_config_static_selectorELNS0_4arch9wavefront6targetE1EEEvSM_, .Lfunc_end28-_ZN7rocprim17ROCPRIM_400000_NS6detail17trampoline_kernelINS0_14default_configENS1_22reduce_config_selectorIfEEZNS1_11reduce_implILb1ES3_N6thrust23THRUST_200600_302600_NS11hip_rocprim26transform_input_iterator_tIfNS8_17counting_iteratorIiNS8_11use_defaultESC_SC_EE11estimate_piEEPffNS8_4plusIfEEEE10hipError_tPvRmT1_T2_T3_mT4_P12ihipStream_tbEUlT_E1_NS1_11comp_targetILNS1_3genE5ELNS1_11target_archE942ELNS1_3gpuE9ELNS1_3repE0EEENS1_30default_config_static_selectorELNS0_4arch9wavefront6targetE1EEEvSM_
                                        ; -- End function
	.section	.AMDGPU.csdata,"",@progbits
; Kernel info:
; codeLenInByte = 0
; NumSgprs: 4
; NumVgprs: 0
; NumAgprs: 0
; TotalNumVgprs: 0
; ScratchSize: 0
; MemoryBound: 0
; FloatMode: 240
; IeeeMode: 1
; LDSByteSize: 0 bytes/workgroup (compile time only)
; SGPRBlocks: 0
; VGPRBlocks: 0
; NumSGPRsForWavesPerEU: 4
; NumVGPRsForWavesPerEU: 1
; AccumOffset: 4
; Occupancy: 8
; WaveLimiterHint : 0
; COMPUTE_PGM_RSRC2:SCRATCH_EN: 0
; COMPUTE_PGM_RSRC2:USER_SGPR: 6
; COMPUTE_PGM_RSRC2:TRAP_HANDLER: 0
; COMPUTE_PGM_RSRC2:TGID_X_EN: 1
; COMPUTE_PGM_RSRC2:TGID_Y_EN: 0
; COMPUTE_PGM_RSRC2:TGID_Z_EN: 0
; COMPUTE_PGM_RSRC2:TIDIG_COMP_CNT: 0
; COMPUTE_PGM_RSRC3_GFX90A:ACCUM_OFFSET: 0
; COMPUTE_PGM_RSRC3_GFX90A:TG_SPLIT: 0
	.section	.text._ZN7rocprim17ROCPRIM_400000_NS6detail17trampoline_kernelINS0_14default_configENS1_22reduce_config_selectorIfEEZNS1_11reduce_implILb1ES3_N6thrust23THRUST_200600_302600_NS11hip_rocprim26transform_input_iterator_tIfNS8_17counting_iteratorIiNS8_11use_defaultESC_SC_EE11estimate_piEEPffNS8_4plusIfEEEE10hipError_tPvRmT1_T2_T3_mT4_P12ihipStream_tbEUlT_E1_NS1_11comp_targetILNS1_3genE4ELNS1_11target_archE910ELNS1_3gpuE8ELNS1_3repE0EEENS1_30default_config_static_selectorELNS0_4arch9wavefront6targetE1EEEvSM_,"axG",@progbits,_ZN7rocprim17ROCPRIM_400000_NS6detail17trampoline_kernelINS0_14default_configENS1_22reduce_config_selectorIfEEZNS1_11reduce_implILb1ES3_N6thrust23THRUST_200600_302600_NS11hip_rocprim26transform_input_iterator_tIfNS8_17counting_iteratorIiNS8_11use_defaultESC_SC_EE11estimate_piEEPffNS8_4plusIfEEEE10hipError_tPvRmT1_T2_T3_mT4_P12ihipStream_tbEUlT_E1_NS1_11comp_targetILNS1_3genE4ELNS1_11target_archE910ELNS1_3gpuE8ELNS1_3repE0EEENS1_30default_config_static_selectorELNS0_4arch9wavefront6targetE1EEEvSM_,comdat
	.protected	_ZN7rocprim17ROCPRIM_400000_NS6detail17trampoline_kernelINS0_14default_configENS1_22reduce_config_selectorIfEEZNS1_11reduce_implILb1ES3_N6thrust23THRUST_200600_302600_NS11hip_rocprim26transform_input_iterator_tIfNS8_17counting_iteratorIiNS8_11use_defaultESC_SC_EE11estimate_piEEPffNS8_4plusIfEEEE10hipError_tPvRmT1_T2_T3_mT4_P12ihipStream_tbEUlT_E1_NS1_11comp_targetILNS1_3genE4ELNS1_11target_archE910ELNS1_3gpuE8ELNS1_3repE0EEENS1_30default_config_static_selectorELNS0_4arch9wavefront6targetE1EEEvSM_ ; -- Begin function _ZN7rocprim17ROCPRIM_400000_NS6detail17trampoline_kernelINS0_14default_configENS1_22reduce_config_selectorIfEEZNS1_11reduce_implILb1ES3_N6thrust23THRUST_200600_302600_NS11hip_rocprim26transform_input_iterator_tIfNS8_17counting_iteratorIiNS8_11use_defaultESC_SC_EE11estimate_piEEPffNS8_4plusIfEEEE10hipError_tPvRmT1_T2_T3_mT4_P12ihipStream_tbEUlT_E1_NS1_11comp_targetILNS1_3genE4ELNS1_11target_archE910ELNS1_3gpuE8ELNS1_3repE0EEENS1_30default_config_static_selectorELNS0_4arch9wavefront6targetE1EEEvSM_
	.globl	_ZN7rocprim17ROCPRIM_400000_NS6detail17trampoline_kernelINS0_14default_configENS1_22reduce_config_selectorIfEEZNS1_11reduce_implILb1ES3_N6thrust23THRUST_200600_302600_NS11hip_rocprim26transform_input_iterator_tIfNS8_17counting_iteratorIiNS8_11use_defaultESC_SC_EE11estimate_piEEPffNS8_4plusIfEEEE10hipError_tPvRmT1_T2_T3_mT4_P12ihipStream_tbEUlT_E1_NS1_11comp_targetILNS1_3genE4ELNS1_11target_archE910ELNS1_3gpuE8ELNS1_3repE0EEENS1_30default_config_static_selectorELNS0_4arch9wavefront6targetE1EEEvSM_
	.p2align	8
	.type	_ZN7rocprim17ROCPRIM_400000_NS6detail17trampoline_kernelINS0_14default_configENS1_22reduce_config_selectorIfEEZNS1_11reduce_implILb1ES3_N6thrust23THRUST_200600_302600_NS11hip_rocprim26transform_input_iterator_tIfNS8_17counting_iteratorIiNS8_11use_defaultESC_SC_EE11estimate_piEEPffNS8_4plusIfEEEE10hipError_tPvRmT1_T2_T3_mT4_P12ihipStream_tbEUlT_E1_NS1_11comp_targetILNS1_3genE4ELNS1_11target_archE910ELNS1_3gpuE8ELNS1_3repE0EEENS1_30default_config_static_selectorELNS0_4arch9wavefront6targetE1EEEvSM_,@function
_ZN7rocprim17ROCPRIM_400000_NS6detail17trampoline_kernelINS0_14default_configENS1_22reduce_config_selectorIfEEZNS1_11reduce_implILb1ES3_N6thrust23THRUST_200600_302600_NS11hip_rocprim26transform_input_iterator_tIfNS8_17counting_iteratorIiNS8_11use_defaultESC_SC_EE11estimate_piEEPffNS8_4plusIfEEEE10hipError_tPvRmT1_T2_T3_mT4_P12ihipStream_tbEUlT_E1_NS1_11comp_targetILNS1_3genE4ELNS1_11target_archE910ELNS1_3gpuE8ELNS1_3repE0EEENS1_30default_config_static_selectorELNS0_4arch9wavefront6targetE1EEEvSM_: ; @_ZN7rocprim17ROCPRIM_400000_NS6detail17trampoline_kernelINS0_14default_configENS1_22reduce_config_selectorIfEEZNS1_11reduce_implILb1ES3_N6thrust23THRUST_200600_302600_NS11hip_rocprim26transform_input_iterator_tIfNS8_17counting_iteratorIiNS8_11use_defaultESC_SC_EE11estimate_piEEPffNS8_4plusIfEEEE10hipError_tPvRmT1_T2_T3_mT4_P12ihipStream_tbEUlT_E1_NS1_11comp_targetILNS1_3genE4ELNS1_11target_archE910ELNS1_3gpuE8ELNS1_3repE0EEENS1_30default_config_static_selectorELNS0_4arch9wavefront6targetE1EEEvSM_
; %bb.0:
	s_load_dwordx2 s[72:73], s[4:5], 0x4
	s_load_dwordx4 s[68:71], s[4:5], 0x10
	s_load_dword s33, s[4:5], 0x20
	s_mov_b64 s[74:75], 0
	s_waitcnt lgkmcnt(0)
	s_cmp_lt_i32 s72, 8
	s_cbranch_scc1 .LBB29_5
; %bb.1:
	s_cmp_gt_i32 s72, 15
	s_mov_b64 s[10:11], 0
	s_cbranch_scc0 .LBB29_7
; %bb.2:
	s_cmp_gt_i32 s72, 31
	s_mov_b64 s[20:21], 0
	s_cbranch_scc0 .LBB29_8
; %bb.3:
	s_cmp_eq_u32 s72, 32
	s_mov_b64 s[0:1], 0
	s_cbranch_scc0 .LBB29_9
; %bb.4:
	s_mov_b32 s7, 0
	s_mov_b64 s[18:19], -1
	s_and_b64 vcc, exec, s[0:1]
	s_cbranch_vccnz .LBB29_10
	s_branch .LBB29_12
.LBB29_5:
	s_mov_b64 s[18:19], 0
	s_mov_b64 s[20:21], 0
	s_mov_b64 s[10:11], 0
	s_cbranch_execnz .LBB29_16
.LBB29_6:
	s_mov_b64 s[76:77], 0
	s_and_b64 vcc, exec, s[10:11]
	s_cbranch_vccnz .LBB29_71
	s_branch .LBB29_137
.LBB29_7:
	s_mov_b64 s[18:19], 0
	s_mov_b64 s[20:21], 0
	s_cbranch_execnz .LBB29_13
	s_branch .LBB29_15
.LBB29_8:
	s_mov_b64 s[0:1], -1
.LBB29_9:
	s_mov_b64 s[18:19], 0
	s_and_b64 vcc, exec, s[0:1]
	s_cbranch_vccz .LBB29_12
.LBB29_10:
	s_cmp_eq_u32 s72, 16
	s_cbranch_scc0 .LBB29_12
; %bb.11:
	s_mov_b32 s7, 0
	s_mov_b64 s[20:21], -1
.LBB29_12:
	s_branch .LBB29_15
.LBB29_13:
	s_cmp_eq_u32 s72, 8
	s_cbranch_scc0 .LBB29_15
; %bb.14:
	s_mov_b32 s7, 0
	s_mov_b64 s[10:11], -1
.LBB29_15:
	s_branch .LBB29_6
.LBB29_16:
	s_cmp_gt_i32 s72, 1
	s_cbranch_scc0 .LBB29_33
; %bb.17:
	s_cmp_gt_i32 s72, 3
	s_cbranch_scc0 .LBB29_34
; %bb.18:
	s_cmp_eq_u32 s72, 4
	s_cbranch_scc0 .LBB29_70
; %bb.19:
	s_lshl_b32 s2, s6, 9
	s_mov_b32 s7, 0
	s_lshr_b64 s[0:1], s[68:69], 9
	s_add_i32 s14, s73, s2
	s_cmp_lg_u64 s[0:1], s[6:7]
	s_cbranch_scc0 .LBB29_35
; %bb.20:
	v_add_u32_e32 v2, s14, v0
	v_lshlrev_b32_e32 v1, 12, v2
	s_mov_b32 s0, 0x7ed55d16
	v_add3_u32 v1, v2, v1, s0
	v_lshrrev_b32_e32 v3, 19, v1
	v_xor_b32_e32 v1, v1, v3
	v_xor_b32_e32 v1, 0xc761c23c, v1
	v_lshl_add_u32 v1, v1, 5, v1
	v_mov_b32_e32 v4, 0xaccf6200
	v_add_u32_e32 v3, 0xe9f8cc1d, v1
	v_lshl_add_u32 v1, v1, 9, v4
	v_xor_b32_e32 v1, v3, v1
	v_lshlrev_b32_e32 v3, 3, v1
	s_mov_b32 s0, 0xfd7046c5
	v_add3_u32 v1, v1, v3, s0
	v_xor_b32_sdwa v1, v1, v1 dst_sel:DWORD dst_unused:UNUSED_PAD src0_sel:DWORD src1_sel:WORD_1
	v_xor_b32_e32 v1, 0xb55a4f09, v1
	v_mul_hi_u32 v3, v1, 3
	v_sub_u32_e32 v4, v1, v3
	v_lshrrev_b32_e32 v4, 1, v4
	v_add_u32_e32 v3, v4, v3
	v_lshrrev_b32_e32 v3, 30, v3
	s_brev_b32 s0, -2
	v_mul_lo_u32 v3, v3, s0
	v_sub_u32_e32 v1, v1, v3
	v_max_u32_e32 v4, 1, v1
	s_movk_i32 s3, 0x2710
	v_mov_b32_e32 v1, 0
	s_mov_b32 s4, 0xbc8f1391
	s_mov_b32 s5, 0xbc8f
	s_brev_b32 s8, 12
	s_mov_b32 s9, 0xf800000
	v_mov_b32_e32 v3, 0x260
.LBB29_21:                              ; =>This Inner Loop Header: Depth=1
	v_mul_hi_u32 v5, v4, s4
	v_lshrrev_b32_e32 v5, 15, v5
	v_mul_u32_u24_e32 v7, 0xadc8, v5
	v_sub_u32_e32 v4, v4, v7
	v_mul_u32_u24_e32 v5, 0xd47, v5
	v_mul_lo_u32 v4, v4, s5
	v_xor_b32_e32 v7, 0x7fffffff, v5
	v_sub_u32_e32 v8, 0, v5
	v_cmp_lt_u32_e32 vcc, v4, v5
	v_cndmask_b32_e32 v5, v8, v7, vcc
	v_add_u32_e32 v4, v5, v4
	v_mul_hi_u32 v7, v4, s4
	v_lshrrev_b32_e32 v7, 15, v7
	v_mul_u32_u24_e32 v8, 0xadc8, v7
	v_add_u32_e32 v5, -1, v4
	v_sub_u32_e32 v4, v4, v8
	v_mul_u32_u24_e32 v7, 0xd47, v7
	v_mul_lo_u32 v4, v4, s5
	v_xor_b32_e32 v8, 0x7fffffff, v7
	v_sub_u32_e32 v9, 0, v7
	v_cmp_lt_u32_e32 vcc, v4, v7
	v_cndmask_b32_e32 v7, v9, v8, vcc
	v_add_u32_e32 v4, v7, v4
	v_mul_hi_u32 v8, v4, s4
	v_add_u32_e32 v7, -1, v4
	v_lshrrev_b32_e32 v8, 15, v8
	v_cvt_f32_u32_e32 v7, v7
	v_mul_u32_u24_e32 v9, 0xadc8, v8
	v_cvt_f32_u32_e32 v5, v5
	v_sub_u32_e32 v4, v4, v9
	v_mul_u32_u24_e32 v8, 0xd47, v8
	v_mul_lo_u32 v4, v4, s5
	v_xor_b32_e32 v9, 0x7fffffff, v8
	v_sub_u32_e32 v10, 0, v8
	v_cmp_lt_u32_e32 vcc, v4, v8
	v_fma_f32 v7, v7, s8, 0
	v_cndmask_b32_e32 v8, v10, v9, vcc
	v_fma_f32 v5, v5, s8, 0
	v_mul_f32_e32 v7, v7, v7
	v_add_u32_e32 v4, v8, v4
	v_fmac_f32_e32 v7, v5, v5
	v_mul_hi_u32 v8, v4, s4
	v_mul_f32_e32 v9, 0x4f800000, v7
	v_lshrrev_b32_e32 v8, 15, v8
	v_cmp_gt_f32_e32 vcc, s9, v7
	v_cndmask_b32_e32 v7, v7, v9, vcc
	v_mul_u32_u24_e32 v9, 0xadc8, v8
	v_add_u32_e32 v5, -1, v4
	v_sqrt_f32_e32 v10, v7
	v_sub_u32_e32 v4, v4, v9
	v_mul_u32_u24_e32 v8, 0xd47, v8
	v_mul_lo_u32 v4, v4, s5
	v_xor_b32_e32 v9, 0x7fffffff, v8
	v_sub_u32_e32 v11, 0, v8
	v_cmp_lt_u32_e64 s[0:1], v4, v8
	v_cndmask_b32_e64 v8, v11, v9, s[0:1]
	v_add_u32_e32 v4, v8, v4
	v_add_u32_e32 v8, -1, v10
	v_add_u32_e32 v9, 1, v10
	v_add_u32_e32 v11, -1, v4
	v_fma_f32 v12, -v8, v10, v7
	v_fma_f32 v13, -v9, v10, v7
	v_cvt_f32_u32_e32 v11, v11
	v_cmp_ge_f32_e64 s[0:1], 0, v12
	v_cvt_f32_u32_e32 v5, v5
	v_cndmask_b32_e64 v8, v10, v8, s[0:1]
	v_cmp_lt_f32_e64 s[0:1], 0, v13
	v_cndmask_b32_e64 v8, v8, v9, s[0:1]
	v_mul_f32_e32 v9, 0x37800000, v8
	v_cndmask_b32_e32 v8, v8, v9, vcc
	v_fma_f32 v9, v11, s8, 0
	v_cmp_class_f32_e32 vcc, v7, v3
	v_fma_f32 v5, v5, s8, 0
	v_cndmask_b32_e32 v7, v8, v7, vcc
	v_mul_f32_e32 v8, v9, v9
	v_add_f32_e32 v6, 1.0, v1
	v_cmp_nge_f32_e32 vcc, 1.0, v7
	v_fmac_f32_e32 v8, v5, v5
	v_cndmask_b32_e32 v1, v6, v1, vcc
	v_mul_f32_e32 v5, 0x4f800000, v8
	v_cmp_gt_f32_e32 vcc, s9, v8
	v_cndmask_b32_e32 v5, v8, v5, vcc
	v_sqrt_f32_e32 v7, v5
	s_add_i32 s3, s3, -2
	v_add_f32_e32 v6, 1.0, v1
	s_cmp_lg_u32 s3, 0
	v_add_u32_e32 v8, -1, v7
	v_add_u32_e32 v9, 1, v7
	v_fma_f32 v10, -v8, v7, v5
	v_fma_f32 v11, -v9, v7, v5
	v_cmp_ge_f32_e64 s[0:1], 0, v10
	v_cndmask_b32_e64 v7, v7, v8, s[0:1]
	v_cmp_lt_f32_e64 s[0:1], 0, v11
	v_cndmask_b32_e64 v7, v7, v9, s[0:1]
	v_mul_f32_e32 v8, 0x37800000, v7
	v_cndmask_b32_e32 v7, v7, v8, vcc
	v_cmp_class_f32_e32 vcc, v5, v3
	v_cndmask_b32_e32 v5, v7, v5, vcc
	v_cmp_nge_f32_e32 vcc, 1.0, v5
	v_cndmask_b32_e32 v1, v6, v1, vcc
	s_cbranch_scc1 .LBB29_21
; %bb.22:
	v_lshl_add_u32 v3, v2, 12, v2
	v_add_u32_e32 v2, 0x7edd5d96, v3
	v_lshrrev_b32_e32 v4, 19, v2
	v_xor_b32_e32 v2, v2, v4
	v_xor_b32_e32 v2, 0xc761c23c, v2
	v_lshl_add_u32 v2, v2, 5, v2
	v_mov_b32_e32 v5, 0xaccf6200
	v_add_u32_e32 v4, 0xe9f8cc1d, v2
	v_lshl_add_u32 v2, v2, 9, v5
	v_xor_b32_e32 v2, v4, v2
	v_lshlrev_b32_e32 v4, 3, v2
	s_mov_b32 s0, 0xfd7046c5
	v_add3_u32 v2, v2, v4, s0
	v_xor_b32_sdwa v2, v2, v2 dst_sel:DWORD dst_unused:UNUSED_PAD src0_sel:DWORD src1_sel:WORD_1
	v_xor_b32_e32 v2, 0xb55a4f09, v2
	v_mul_hi_u32 v4, v2, 3
	v_sub_u32_e32 v5, v2, v4
	v_lshrrev_b32_e32 v5, 1, v5
	v_add_u32_e32 v4, v5, v4
	v_lshrrev_b32_e32 v4, 30, v4
	s_brev_b32 s0, -2
	v_mul_lo_u32 v4, v4, s0
	v_sub_u32_e32 v2, v2, v4
	v_max_u32_e32 v5, 1, v2
	s_movk_i32 s3, 0x2710
	v_mov_b32_e32 v2, 0
	s_mov_b32 s4, 0xbc8f1391
	s_mov_b32 s5, 0xbc8f
	s_brev_b32 s8, 12
	s_mov_b32 s9, 0xf800000
	v_mov_b32_e32 v4, 0x260
.LBB29_23:                              ; =>This Inner Loop Header: Depth=1
	v_mul_hi_u32 v6, v5, s4
	v_lshrrev_b32_e32 v6, 15, v6
	v_mul_u32_u24_e32 v8, 0xadc8, v6
	v_sub_u32_e32 v5, v5, v8
	v_mul_u32_u24_e32 v6, 0xd47, v6
	v_mul_lo_u32 v5, v5, s5
	v_xor_b32_e32 v8, 0x7fffffff, v6
	v_sub_u32_e32 v9, 0, v6
	v_cmp_lt_u32_e32 vcc, v5, v6
	v_cndmask_b32_e32 v6, v9, v8, vcc
	v_add_u32_e32 v5, v6, v5
	v_mul_hi_u32 v8, v5, s4
	v_lshrrev_b32_e32 v8, 15, v8
	v_mul_u32_u24_e32 v9, 0xadc8, v8
	v_add_u32_e32 v6, -1, v5
	v_sub_u32_e32 v5, v5, v9
	v_mul_u32_u24_e32 v8, 0xd47, v8
	v_mul_lo_u32 v5, v5, s5
	v_xor_b32_e32 v9, 0x7fffffff, v8
	v_sub_u32_e32 v10, 0, v8
	v_cmp_lt_u32_e32 vcc, v5, v8
	v_cndmask_b32_e32 v8, v10, v9, vcc
	v_add_u32_e32 v5, v8, v5
	v_mul_hi_u32 v9, v5, s4
	v_add_u32_e32 v8, -1, v5
	v_lshrrev_b32_e32 v9, 15, v9
	v_cvt_f32_u32_e32 v8, v8
	v_mul_u32_u24_e32 v10, 0xadc8, v9
	v_cvt_f32_u32_e32 v6, v6
	v_sub_u32_e32 v5, v5, v10
	v_mul_u32_u24_e32 v9, 0xd47, v9
	v_mul_lo_u32 v5, v5, s5
	v_xor_b32_e32 v10, 0x7fffffff, v9
	v_sub_u32_e32 v11, 0, v9
	v_cmp_lt_u32_e32 vcc, v5, v9
	v_fma_f32 v8, v8, s8, 0
	v_cndmask_b32_e32 v9, v11, v10, vcc
	v_fma_f32 v6, v6, s8, 0
	v_mul_f32_e32 v8, v8, v8
	v_add_u32_e32 v5, v9, v5
	v_fmac_f32_e32 v8, v6, v6
	v_mul_hi_u32 v9, v5, s4
	v_mul_f32_e32 v10, 0x4f800000, v8
	v_lshrrev_b32_e32 v9, 15, v9
	v_cmp_gt_f32_e32 vcc, s9, v8
	v_cndmask_b32_e32 v8, v8, v10, vcc
	v_mul_u32_u24_e32 v10, 0xadc8, v9
	v_add_u32_e32 v6, -1, v5
	v_sqrt_f32_e32 v11, v8
	v_sub_u32_e32 v5, v5, v10
	v_mul_u32_u24_e32 v9, 0xd47, v9
	v_mul_lo_u32 v5, v5, s5
	v_xor_b32_e32 v10, 0x7fffffff, v9
	v_sub_u32_e32 v12, 0, v9
	v_cmp_lt_u32_e64 s[0:1], v5, v9
	v_cndmask_b32_e64 v9, v12, v10, s[0:1]
	v_add_u32_e32 v5, v9, v5
	v_add_u32_e32 v9, -1, v11
	v_add_u32_e32 v10, 1, v11
	v_add_u32_e32 v12, -1, v5
	v_fma_f32 v13, -v9, v11, v8
	v_fma_f32 v14, -v10, v11, v8
	v_cvt_f32_u32_e32 v12, v12
	v_cmp_ge_f32_e64 s[0:1], 0, v13
	v_cvt_f32_u32_e32 v6, v6
	v_cndmask_b32_e64 v9, v11, v9, s[0:1]
	v_cmp_lt_f32_e64 s[0:1], 0, v14
	v_cndmask_b32_e64 v9, v9, v10, s[0:1]
	v_mul_f32_e32 v10, 0x37800000, v9
	v_cndmask_b32_e32 v9, v9, v10, vcc
	v_fma_f32 v10, v12, s8, 0
	v_cmp_class_f32_e32 vcc, v8, v4
	v_fma_f32 v6, v6, s8, 0
	v_cndmask_b32_e32 v8, v9, v8, vcc
	v_mul_f32_e32 v9, v10, v10
	v_add_f32_e32 v7, 1.0, v2
	v_cmp_nge_f32_e32 vcc, 1.0, v8
	v_fmac_f32_e32 v9, v6, v6
	v_cndmask_b32_e32 v2, v7, v2, vcc
	v_mul_f32_e32 v6, 0x4f800000, v9
	v_cmp_gt_f32_e32 vcc, s9, v9
	v_cndmask_b32_e32 v6, v9, v6, vcc
	v_sqrt_f32_e32 v8, v6
	s_add_i32 s3, s3, -2
	v_add_f32_e32 v7, 1.0, v2
	s_cmp_lg_u32 s3, 0
	v_add_u32_e32 v9, -1, v8
	v_add_u32_e32 v10, 1, v8
	v_fma_f32 v11, -v9, v8, v6
	v_fma_f32 v12, -v10, v8, v6
	v_cmp_ge_f32_e64 s[0:1], 0, v11
	v_cndmask_b32_e64 v8, v8, v9, s[0:1]
	v_cmp_lt_f32_e64 s[0:1], 0, v12
	v_cndmask_b32_e64 v8, v8, v10, s[0:1]
	v_mul_f32_e32 v9, 0x37800000, v8
	v_cndmask_b32_e32 v8, v8, v9, vcc
	v_cmp_class_f32_e32 vcc, v6, v4
	v_cndmask_b32_e32 v6, v8, v6, vcc
	v_cmp_nge_f32_e32 vcc, 1.0, v6
	v_cndmask_b32_e32 v2, v7, v2, vcc
	s_cbranch_scc1 .LBB29_23
; %bb.24:
	v_add_u32_e32 v4, 0x7ee55e16, v3
	v_lshrrev_b32_e32 v5, 19, v4
	v_xor_b32_e32 v4, v4, v5
	v_xor_b32_e32 v4, 0xc761c23c, v4
	v_lshl_add_u32 v4, v4, 5, v4
	v_mov_b32_e32 v6, 0xaccf6200
	v_add_u32_e32 v5, 0xe9f8cc1d, v4
	v_lshl_add_u32 v4, v4, 9, v6
	v_xor_b32_e32 v4, v5, v4
	v_lshlrev_b32_e32 v5, 3, v4
	s_mov_b32 s0, 0xfd7046c5
	v_add3_u32 v4, v4, v5, s0
	v_xor_b32_sdwa v4, v4, v4 dst_sel:DWORD dst_unused:UNUSED_PAD src0_sel:DWORD src1_sel:WORD_1
	v_xor_b32_e32 v4, 0xb55a4f09, v4
	v_mul_hi_u32 v5, v4, 3
	v_sub_u32_e32 v6, v4, v5
	v_lshrrev_b32_e32 v6, 1, v6
	v_add_u32_e32 v5, v6, v5
	v_lshrrev_b32_e32 v5, 30, v5
	s_brev_b32 s0, -2
	v_mul_lo_u32 v5, v5, s0
	v_sub_u32_e32 v4, v4, v5
	v_max_u32_e32 v6, 1, v4
	s_movk_i32 s3, 0x2710
	v_mov_b32_e32 v4, 0
	s_mov_b32 s4, 0xbc8f1391
	s_mov_b32 s5, 0xbc8f
	s_brev_b32 s8, 12
	s_mov_b32 s9, 0xf800000
	v_mov_b32_e32 v5, 0x260
.LBB29_25:                              ; =>This Inner Loop Header: Depth=1
	v_mul_hi_u32 v7, v6, s4
	v_lshrrev_b32_e32 v7, 15, v7
	v_mul_u32_u24_e32 v9, 0xadc8, v7
	v_sub_u32_e32 v6, v6, v9
	v_mul_u32_u24_e32 v7, 0xd47, v7
	v_mul_lo_u32 v6, v6, s5
	v_xor_b32_e32 v9, 0x7fffffff, v7
	v_sub_u32_e32 v10, 0, v7
	v_cmp_lt_u32_e32 vcc, v6, v7
	v_cndmask_b32_e32 v7, v10, v9, vcc
	v_add_u32_e32 v6, v7, v6
	v_mul_hi_u32 v9, v6, s4
	v_lshrrev_b32_e32 v9, 15, v9
	v_mul_u32_u24_e32 v10, 0xadc8, v9
	v_add_u32_e32 v7, -1, v6
	v_sub_u32_e32 v6, v6, v10
	v_mul_u32_u24_e32 v9, 0xd47, v9
	v_mul_lo_u32 v6, v6, s5
	v_xor_b32_e32 v10, 0x7fffffff, v9
	v_sub_u32_e32 v11, 0, v9
	v_cmp_lt_u32_e32 vcc, v6, v9
	v_cndmask_b32_e32 v9, v11, v10, vcc
	v_add_u32_e32 v6, v9, v6
	v_mul_hi_u32 v10, v6, s4
	v_add_u32_e32 v9, -1, v6
	v_lshrrev_b32_e32 v10, 15, v10
	v_cvt_f32_u32_e32 v9, v9
	v_mul_u32_u24_e32 v11, 0xadc8, v10
	v_cvt_f32_u32_e32 v7, v7
	v_sub_u32_e32 v6, v6, v11
	v_mul_u32_u24_e32 v10, 0xd47, v10
	v_mul_lo_u32 v6, v6, s5
	v_xor_b32_e32 v11, 0x7fffffff, v10
	v_sub_u32_e32 v12, 0, v10
	v_cmp_lt_u32_e32 vcc, v6, v10
	v_fma_f32 v9, v9, s8, 0
	v_cndmask_b32_e32 v10, v12, v11, vcc
	v_fma_f32 v7, v7, s8, 0
	v_mul_f32_e32 v9, v9, v9
	v_add_u32_e32 v6, v10, v6
	v_fmac_f32_e32 v9, v7, v7
	v_mul_hi_u32 v10, v6, s4
	v_mul_f32_e32 v11, 0x4f800000, v9
	v_lshrrev_b32_e32 v10, 15, v10
	v_cmp_gt_f32_e32 vcc, s9, v9
	v_cndmask_b32_e32 v9, v9, v11, vcc
	v_mul_u32_u24_e32 v11, 0xadc8, v10
	v_add_u32_e32 v7, -1, v6
	v_sqrt_f32_e32 v12, v9
	v_sub_u32_e32 v6, v6, v11
	v_mul_u32_u24_e32 v10, 0xd47, v10
	v_mul_lo_u32 v6, v6, s5
	v_xor_b32_e32 v11, 0x7fffffff, v10
	v_sub_u32_e32 v13, 0, v10
	v_cmp_lt_u32_e64 s[0:1], v6, v10
	v_cndmask_b32_e64 v10, v13, v11, s[0:1]
	v_add_u32_e32 v6, v10, v6
	v_add_u32_e32 v10, -1, v12
	v_add_u32_e32 v11, 1, v12
	v_add_u32_e32 v13, -1, v6
	v_fma_f32 v14, -v10, v12, v9
	v_fma_f32 v15, -v11, v12, v9
	v_cvt_f32_u32_e32 v13, v13
	v_cmp_ge_f32_e64 s[0:1], 0, v14
	v_cvt_f32_u32_e32 v7, v7
	v_cndmask_b32_e64 v10, v12, v10, s[0:1]
	v_cmp_lt_f32_e64 s[0:1], 0, v15
	v_cndmask_b32_e64 v10, v10, v11, s[0:1]
	v_mul_f32_e32 v11, 0x37800000, v10
	v_cndmask_b32_e32 v10, v10, v11, vcc
	v_fma_f32 v11, v13, s8, 0
	v_cmp_class_f32_e32 vcc, v9, v5
	v_fma_f32 v7, v7, s8, 0
	v_cndmask_b32_e32 v9, v10, v9, vcc
	v_mul_f32_e32 v10, v11, v11
	v_add_f32_e32 v8, 1.0, v4
	v_cmp_nge_f32_e32 vcc, 1.0, v9
	v_fmac_f32_e32 v10, v7, v7
	v_cndmask_b32_e32 v4, v8, v4, vcc
	v_mul_f32_e32 v7, 0x4f800000, v10
	v_cmp_gt_f32_e32 vcc, s9, v10
	v_cndmask_b32_e32 v7, v10, v7, vcc
	v_sqrt_f32_e32 v9, v7
	s_add_i32 s3, s3, -2
	v_add_f32_e32 v8, 1.0, v4
	s_cmp_lg_u32 s3, 0
	v_add_u32_e32 v10, -1, v9
	v_add_u32_e32 v11, 1, v9
	v_fma_f32 v12, -v10, v9, v7
	v_fma_f32 v13, -v11, v9, v7
	v_cmp_ge_f32_e64 s[0:1], 0, v12
	v_cndmask_b32_e64 v9, v9, v10, s[0:1]
	v_cmp_lt_f32_e64 s[0:1], 0, v13
	v_cndmask_b32_e64 v9, v9, v11, s[0:1]
	v_mul_f32_e32 v10, 0x37800000, v9
	v_cndmask_b32_e32 v9, v9, v10, vcc
	v_cmp_class_f32_e32 vcc, v7, v5
	v_cndmask_b32_e32 v7, v9, v7, vcc
	v_cmp_nge_f32_e32 vcc, 1.0, v7
	v_cndmask_b32_e32 v4, v8, v4, vcc
	s_cbranch_scc1 .LBB29_25
; %bb.26:
	v_add_u32_e32 v3, 0x7eed5e96, v3
	v_lshrrev_b32_e32 v5, 19, v3
	v_xor_b32_e32 v3, v3, v5
	v_xor_b32_e32 v3, 0xc761c23c, v3
	v_lshl_add_u32 v3, v3, 5, v3
	v_mov_b32_e32 v6, 0xaccf6200
	v_add_u32_e32 v5, 0xe9f8cc1d, v3
	v_lshl_add_u32 v3, v3, 9, v6
	v_xor_b32_e32 v3, v5, v3
	v_lshlrev_b32_e32 v5, 3, v3
	s_mov_b32 s0, 0xfd7046c5
	v_add3_u32 v3, v3, v5, s0
	v_xor_b32_sdwa v3, v3, v3 dst_sel:DWORD dst_unused:UNUSED_PAD src0_sel:DWORD src1_sel:WORD_1
	v_xor_b32_e32 v3, 0xb55a4f09, v3
	v_mul_hi_u32 v5, v3, 3
	v_sub_u32_e32 v6, v3, v5
	v_lshrrev_b32_e32 v6, 1, v6
	v_add_u32_e32 v5, v6, v5
	v_lshrrev_b32_e32 v5, 30, v5
	s_brev_b32 s0, -2
	v_mul_lo_u32 v5, v5, s0
	v_sub_u32_e32 v3, v3, v5
	v_max_u32_e32 v6, 1, v3
	s_movk_i32 s3, 0x2710
	v_mov_b32_e32 v3, 0
	s_mov_b32 s4, 0xbc8f1391
	s_mov_b32 s5, 0xbc8f
	s_brev_b32 s8, 12
	s_mov_b32 s9, 0xf800000
	v_mov_b32_e32 v5, 0x260
.LBB29_27:                              ; =>This Inner Loop Header: Depth=1
	v_mul_hi_u32 v7, v6, s4
	v_lshrrev_b32_e32 v7, 15, v7
	v_mul_u32_u24_e32 v9, 0xadc8, v7
	v_sub_u32_e32 v6, v6, v9
	v_mul_u32_u24_e32 v7, 0xd47, v7
	v_mul_lo_u32 v6, v6, s5
	v_xor_b32_e32 v9, 0x7fffffff, v7
	v_sub_u32_e32 v10, 0, v7
	v_cmp_lt_u32_e32 vcc, v6, v7
	v_cndmask_b32_e32 v7, v10, v9, vcc
	v_add_u32_e32 v6, v7, v6
	v_mul_hi_u32 v9, v6, s4
	v_lshrrev_b32_e32 v9, 15, v9
	v_mul_u32_u24_e32 v10, 0xadc8, v9
	v_add_u32_e32 v7, -1, v6
	v_sub_u32_e32 v6, v6, v10
	v_mul_u32_u24_e32 v9, 0xd47, v9
	v_mul_lo_u32 v6, v6, s5
	v_xor_b32_e32 v10, 0x7fffffff, v9
	v_sub_u32_e32 v11, 0, v9
	v_cmp_lt_u32_e32 vcc, v6, v9
	v_cndmask_b32_e32 v9, v11, v10, vcc
	v_add_u32_e32 v6, v9, v6
	v_mul_hi_u32 v10, v6, s4
	v_add_u32_e32 v9, -1, v6
	v_lshrrev_b32_e32 v10, 15, v10
	v_cvt_f32_u32_e32 v9, v9
	v_mul_u32_u24_e32 v11, 0xadc8, v10
	v_cvt_f32_u32_e32 v7, v7
	v_sub_u32_e32 v6, v6, v11
	v_mul_u32_u24_e32 v10, 0xd47, v10
	v_mul_lo_u32 v6, v6, s5
	v_xor_b32_e32 v11, 0x7fffffff, v10
	v_sub_u32_e32 v12, 0, v10
	v_cmp_lt_u32_e32 vcc, v6, v10
	v_fma_f32 v9, v9, s8, 0
	v_cndmask_b32_e32 v10, v12, v11, vcc
	v_fma_f32 v7, v7, s8, 0
	v_mul_f32_e32 v9, v9, v9
	v_add_u32_e32 v6, v10, v6
	v_fmac_f32_e32 v9, v7, v7
	v_mul_hi_u32 v10, v6, s4
	v_mul_f32_e32 v11, 0x4f800000, v9
	v_lshrrev_b32_e32 v10, 15, v10
	v_cmp_gt_f32_e32 vcc, s9, v9
	v_cndmask_b32_e32 v9, v9, v11, vcc
	v_mul_u32_u24_e32 v11, 0xadc8, v10
	v_add_u32_e32 v7, -1, v6
	v_sqrt_f32_e32 v12, v9
	v_sub_u32_e32 v6, v6, v11
	v_mul_u32_u24_e32 v10, 0xd47, v10
	v_mul_lo_u32 v6, v6, s5
	v_xor_b32_e32 v11, 0x7fffffff, v10
	v_sub_u32_e32 v13, 0, v10
	v_cmp_lt_u32_e64 s[0:1], v6, v10
	v_cndmask_b32_e64 v10, v13, v11, s[0:1]
	v_add_u32_e32 v6, v10, v6
	v_add_u32_e32 v10, -1, v12
	v_add_u32_e32 v11, 1, v12
	v_add_u32_e32 v13, -1, v6
	v_fma_f32 v14, -v10, v12, v9
	v_fma_f32 v15, -v11, v12, v9
	v_cvt_f32_u32_e32 v13, v13
	v_cmp_ge_f32_e64 s[0:1], 0, v14
	v_cvt_f32_u32_e32 v7, v7
	v_cndmask_b32_e64 v10, v12, v10, s[0:1]
	v_cmp_lt_f32_e64 s[0:1], 0, v15
	v_cndmask_b32_e64 v10, v10, v11, s[0:1]
	v_mul_f32_e32 v11, 0x37800000, v10
	v_cndmask_b32_e32 v10, v10, v11, vcc
	v_fma_f32 v11, v13, s8, 0
	v_cmp_class_f32_e32 vcc, v9, v5
	v_fma_f32 v7, v7, s8, 0
	v_cndmask_b32_e32 v9, v10, v9, vcc
	v_mul_f32_e32 v10, v11, v11
	v_add_f32_e32 v8, 1.0, v3
	v_cmp_nge_f32_e32 vcc, 1.0, v9
	v_fmac_f32_e32 v10, v7, v7
	v_cndmask_b32_e32 v3, v8, v3, vcc
	v_mul_f32_e32 v7, 0x4f800000, v10
	v_cmp_gt_f32_e32 vcc, s9, v10
	v_cndmask_b32_e32 v7, v10, v7, vcc
	v_sqrt_f32_e32 v9, v7
	s_add_i32 s3, s3, -2
	v_add_f32_e32 v8, 1.0, v3
	s_cmp_lg_u32 s3, 0
	v_add_u32_e32 v10, -1, v9
	v_add_u32_e32 v11, 1, v9
	v_fma_f32 v12, -v10, v9, v7
	v_fma_f32 v13, -v11, v9, v7
	v_cmp_ge_f32_e64 s[0:1], 0, v12
	v_cndmask_b32_e64 v9, v9, v10, s[0:1]
	v_cmp_lt_f32_e64 s[0:1], 0, v13
	v_cndmask_b32_e64 v9, v9, v11, s[0:1]
	v_mul_f32_e32 v10, 0x37800000, v9
	v_cndmask_b32_e32 v9, v9, v10, vcc
	v_cmp_class_f32_e32 vcc, v7, v5
	v_cndmask_b32_e32 v7, v9, v7, vcc
	v_cmp_nge_f32_e32 vcc, 1.0, v7
	v_cndmask_b32_e32 v3, v8, v3, vcc
	s_cbranch_scc1 .LBB29_27
; %bb.28:
	v_mul_f32_e32 v1, 4.0, v1
	s_mov_b32 s3, 0x461c4000
	v_div_scale_f32 v5, s[0:1], s3, s3, v1
	v_rcp_f32_e32 v6, v5
	v_mul_f32_e32 v2, 4.0, v2
	v_mul_f32_e32 v4, 4.0, v4
	v_mul_f32_e32 v3, 4.0, v3
	v_fma_f32 v7, -v5, v6, 1.0
	v_fmac_f32_e32 v6, v7, v6
	v_div_scale_f32 v7, vcc, v1, s3, v1
	v_mul_f32_e32 v8, v7, v6
	v_fma_f32 v9, -v5, v8, v7
	v_fmac_f32_e32 v8, v9, v6
	v_fma_f32 v5, -v5, v8, v7
	v_div_scale_f32 v7, s[0:1], s3, s3, v2
	v_rcp_f32_e32 v9, v7
	v_div_fmas_f32 v5, v5, v6, v8
	v_div_fixup_f32 v1, v5, s3, v1
	v_fma_f32 v5, -v7, v9, 1.0
	v_fmac_f32_e32 v9, v5, v9
	v_div_scale_f32 v5, vcc, v2, s3, v2
	v_mul_f32_e32 v6, v5, v9
	v_fma_f32 v8, -v7, v6, v5
	v_fmac_f32_e32 v6, v8, v9
	v_fma_f32 v5, -v7, v6, v5
	v_div_scale_f32 v7, s[0:1], s3, s3, v4
	v_rcp_f32_e32 v8, v7
	v_div_fmas_f32 v5, v5, v9, v6
	v_div_fixup_f32 v2, v5, s3, v2
	v_add_f32_e32 v1, v1, v2
	v_fma_f32 v5, -v7, v8, 1.0
	v_fmac_f32_e32 v8, v5, v8
	v_div_scale_f32 v5, vcc, v4, s3, v4
	v_mul_f32_e32 v6, v5, v8
	v_fma_f32 v9, -v7, v6, v5
	v_fmac_f32_e32 v6, v9, v8
	v_fma_f32 v5, -v7, v6, v5
	v_div_scale_f32 v7, s[0:1], s3, s3, v3
	v_rcp_f32_e32 v9, v7
	v_div_fmas_f32 v5, v5, v8, v6
	v_div_fixup_f32 v4, v5, s3, v4
	v_add_f32_e32 v1, v1, v4
	v_fma_f32 v5, -v7, v9, 1.0
	v_fmac_f32_e32 v9, v5, v9
	v_div_scale_f32 v5, vcc, v3, s3, v3
	v_mul_f32_e32 v6, v5, v9
	v_fma_f32 v8, -v7, v6, v5
	v_fmac_f32_e32 v6, v8, v9
	v_fma_f32 v5, -v7, v6, v5
	v_div_fmas_f32 v5, v5, v9, v6
	v_div_fixup_f32 v3, v5, s3, v3
	v_add_f32_e32 v2, v1, v3
	v_mbcnt_lo_u32_b32 v1, -1, 0
	v_mbcnt_hi_u32_b32 v1, -1, v1
	v_add_f32_dpp v2, v2, v2 quad_perm:[1,0,3,2] row_mask:0xf bank_mask:0xf bound_ctrl:1
	v_lshlrev_b32_e32 v3, 2, v1
	v_or_b32_e32 v4, 0xfc, v3
	v_add_f32_dpp v2, v2, v2 quad_perm:[2,3,0,1] row_mask:0xf bank_mask:0xf bound_ctrl:1
	v_cmp_eq_u32_e32 vcc, 0, v1
	s_nop 0
	v_add_f32_dpp v2, v2, v2 row_ror:4 row_mask:0xf bank_mask:0xf bound_ctrl:1
	s_nop 1
	v_add_f32_dpp v2, v2, v2 row_ror:8 row_mask:0xf bank_mask:0xf bound_ctrl:1
	s_nop 1
	v_add_f32_dpp v2, v2, v2 row_bcast:15 row_mask:0xf bank_mask:0xf bound_ctrl:1
	s_nop 1
	v_add_f32_dpp v2, v2, v2 row_bcast:31 row_mask:0xf bank_mask:0xf bound_ctrl:1
	ds_bpermute_b32 v2, v4, v2
	s_and_saveexec_b64 s[0:1], vcc
	s_cbranch_execz .LBB29_30
; %bb.29:
	v_lshrrev_b32_e32 v4, 4, v0
	v_and_b32_e32 v4, 4, v4
	s_waitcnt lgkmcnt(0)
	ds_write_b32 v4, v2 offset:32
.LBB29_30:
	s_or_b64 exec, exec, s[0:1]
	v_cmp_gt_u32_e32 vcc, 64, v0
	s_waitcnt lgkmcnt(0)
	s_barrier
	s_and_saveexec_b64 s[0:1], vcc
	s_cbranch_execz .LBB29_32
; %bb.31:
	v_and_b32_e32 v1, 1, v1
	v_lshlrev_b32_e32 v1, 2, v1
	ds_read_b32 v1, v1 offset:32
	v_or_b32_e32 v2, 4, v3
	s_waitcnt lgkmcnt(0)
	ds_bpermute_b32 v2, v2, v1
	s_waitcnt lgkmcnt(0)
	v_add_f32_e32 v2, v1, v2
.LBB29_32:
	s_or_b64 exec, exec, s[0:1]
	s_mov_b64 s[0:1], 0
	s_branch .LBB29_36
.LBB29_33:
	s_mov_b64 s[76:77], 0
	s_mov_b64 s[74:75], -1
	s_and_b64 vcc, exec, s[10:11]
	s_cbranch_vccnz .LBB29_71
	s_branch .LBB29_137
.LBB29_34:
	s_mov_b64 s[76:77], -1
	s_mov_b64 s[74:75], 0
	s_and_b64 vcc, exec, s[10:11]
	s_cbranch_vccnz .LBB29_71
	s_branch .LBB29_137
.LBB29_35:
	s_mov_b64 s[0:1], -1
                                        ; implicit-def: $vgpr2
.LBB29_36:
	s_and_b64 vcc, exec, s[0:1]
	s_cbranch_vccnz .LBB29_41
; %bb.37:
	v_cmp_eq_u32_e32 vcc, 0, v0
	s_and_saveexec_b64 s[0:1], vcc
	s_cbranch_execnz .LBB29_62
.LBB29_38:
	s_or_b64 exec, exec, s[0:1]
	s_cmp_lt_i32 s72, 16
	s_cbranch_scc1 .LBB29_63
.LBB29_39:
	s_cmp_gt_i32 s72, 31
	s_cbranch_scc0 .LBB29_64
; %bb.40:
	s_cmp_eq_u32 s72, 32
	s_mov_b64 s[0:1], 0
	s_cselect_b64 s[18:19], -1, 0
	s_branch .LBB29_65
.LBB29_41:
	s_sub_i32 s15, s68, s2
	v_cmp_gt_u32_e32 vcc, s15, v0
                                        ; implicit-def: $vgpr2_vgpr3_vgpr4_vgpr5
	s_and_saveexec_b64 s[2:3], vcc
	s_cbranch_execz .LBB29_45
; %bb.42:
	v_add_u32_e32 v1, s14, v0
	v_lshlrev_b32_e32 v2, 12, v1
	s_mov_b32 s0, 0x7ed55d16
	v_add3_u32 v1, v1, v2, s0
	v_lshrrev_b32_e32 v2, 19, v1
	v_xor_b32_e32 v1, v1, v2
	v_xor_b32_e32 v1, 0xc761c23c, v1
	v_lshl_add_u32 v1, v1, 5, v1
	v_mov_b32_e32 v3, 0xaccf6200
	v_add_u32_e32 v2, 0xe9f8cc1d, v1
	v_lshl_add_u32 v1, v1, 9, v3
	v_xor_b32_e32 v1, v2, v1
	v_lshlrev_b32_e32 v2, 3, v1
	s_mov_b32 s0, 0xfd7046c5
	v_add3_u32 v1, v1, v2, s0
	v_xor_b32_sdwa v1, v1, v1 dst_sel:DWORD dst_unused:UNUSED_PAD src0_sel:DWORD src1_sel:WORD_1
	v_xor_b32_e32 v1, 0xb55a4f09, v1
	v_mul_hi_u32 v2, v1, 3
	v_sub_u32_e32 v3, v1, v2
	v_lshrrev_b32_e32 v3, 1, v3
	v_add_u32_e32 v2, v3, v2
	v_lshrrev_b32_e32 v2, 30, v2
	s_brev_b32 s0, -2
	v_mul_lo_u32 v2, v2, s0
	v_sub_u32_e32 v1, v1, v2
	v_max_u32_e32 v3, 1, v1
	s_movk_i32 s4, 0x2710
	v_mov_b32_e32 v2, 0
	s_mov_b32 s5, 0xbc8f1391
	s_mov_b32 s8, 0xbc8f
	s_brev_b32 s9, 12
	s_mov_b32 s12, 0xf800000
	v_mov_b32_e32 v1, 0x260
.LBB29_43:                              ; =>This Inner Loop Header: Depth=1
	v_mul_hi_u32 v4, v3, s5
	v_lshrrev_b32_e32 v4, 15, v4
	v_mul_u32_u24_e32 v6, 0xadc8, v4
	v_sub_u32_e32 v3, v3, v6
	v_mul_u32_u24_e32 v4, 0xd47, v4
	v_mul_lo_u32 v3, v3, s8
	v_xor_b32_e32 v6, 0x7fffffff, v4
	v_sub_u32_e32 v7, 0, v4
	v_cmp_lt_u32_e32 vcc, v3, v4
	v_cndmask_b32_e32 v4, v7, v6, vcc
	v_add_u32_e32 v3, v4, v3
	v_mul_hi_u32 v6, v3, s5
	v_lshrrev_b32_e32 v6, 15, v6
	v_mul_u32_u24_e32 v7, 0xadc8, v6
	v_add_u32_e32 v4, -1, v3
	v_sub_u32_e32 v3, v3, v7
	v_mul_u32_u24_e32 v6, 0xd47, v6
	v_mul_lo_u32 v3, v3, s8
	v_xor_b32_e32 v7, 0x7fffffff, v6
	v_sub_u32_e32 v8, 0, v6
	v_cmp_lt_u32_e32 vcc, v3, v6
	v_cndmask_b32_e32 v6, v8, v7, vcc
	v_add_u32_e32 v3, v6, v3
	v_mul_hi_u32 v7, v3, s5
	v_add_u32_e32 v6, -1, v3
	v_lshrrev_b32_e32 v7, 15, v7
	v_cvt_f32_u32_e32 v6, v6
	v_mul_u32_u24_e32 v8, 0xadc8, v7
	v_cvt_f32_u32_e32 v4, v4
	v_sub_u32_e32 v3, v3, v8
	v_mul_u32_u24_e32 v7, 0xd47, v7
	v_mul_lo_u32 v3, v3, s8
	v_xor_b32_e32 v8, 0x7fffffff, v7
	v_sub_u32_e32 v9, 0, v7
	v_cmp_lt_u32_e32 vcc, v3, v7
	v_fma_f32 v6, v6, s9, 0
	v_cndmask_b32_e32 v7, v9, v8, vcc
	v_fma_f32 v4, v4, s9, 0
	v_mul_f32_e32 v6, v6, v6
	v_add_u32_e32 v3, v7, v3
	v_fmac_f32_e32 v6, v4, v4
	v_mul_hi_u32 v7, v3, s5
	v_mul_f32_e32 v8, 0x4f800000, v6
	v_lshrrev_b32_e32 v7, 15, v7
	v_cmp_gt_f32_e32 vcc, s12, v6
	v_cndmask_b32_e32 v6, v6, v8, vcc
	v_mul_u32_u24_e32 v8, 0xadc8, v7
	v_add_u32_e32 v4, -1, v3
	v_sqrt_f32_e32 v9, v6
	v_sub_u32_e32 v3, v3, v8
	v_mul_u32_u24_e32 v7, 0xd47, v7
	v_mul_lo_u32 v3, v3, s8
	v_xor_b32_e32 v8, 0x7fffffff, v7
	v_sub_u32_e32 v10, 0, v7
	v_cmp_lt_u32_e64 s[0:1], v3, v7
	v_cndmask_b32_e64 v7, v10, v8, s[0:1]
	v_add_u32_e32 v3, v7, v3
	v_add_u32_e32 v7, -1, v9
	v_add_u32_e32 v8, 1, v9
	v_add_u32_e32 v10, -1, v3
	v_fma_f32 v11, -v7, v9, v6
	v_fma_f32 v12, -v8, v9, v6
	v_cvt_f32_u32_e32 v10, v10
	v_cmp_ge_f32_e64 s[0:1], 0, v11
	v_cvt_f32_u32_e32 v4, v4
	v_cndmask_b32_e64 v7, v9, v7, s[0:1]
	v_cmp_lt_f32_e64 s[0:1], 0, v12
	v_cndmask_b32_e64 v7, v7, v8, s[0:1]
	v_mul_f32_e32 v8, 0x37800000, v7
	v_cndmask_b32_e32 v7, v7, v8, vcc
	v_fma_f32 v8, v10, s9, 0
	v_cmp_class_f32_e32 vcc, v6, v1
	v_fma_f32 v4, v4, s9, 0
	v_cndmask_b32_e32 v6, v7, v6, vcc
	v_mul_f32_e32 v7, v8, v8
	v_add_f32_e32 v5, 1.0, v2
	v_cmp_nge_f32_e32 vcc, 1.0, v6
	v_fmac_f32_e32 v7, v4, v4
	v_cndmask_b32_e32 v2, v5, v2, vcc
	v_mul_f32_e32 v4, 0x4f800000, v7
	v_cmp_gt_f32_e32 vcc, s12, v7
	v_cndmask_b32_e32 v4, v7, v4, vcc
	v_sqrt_f32_e32 v6, v4
	s_add_i32 s4, s4, -2
	v_add_f32_e32 v5, 1.0, v2
	s_cmp_lg_u32 s4, 0
	v_add_u32_e32 v7, -1, v6
	v_add_u32_e32 v8, 1, v6
	v_fma_f32 v9, -v7, v6, v4
	v_fma_f32 v10, -v8, v6, v4
	v_cmp_ge_f32_e64 s[0:1], 0, v9
	v_cndmask_b32_e64 v6, v6, v7, s[0:1]
	v_cmp_lt_f32_e64 s[0:1], 0, v10
	v_cndmask_b32_e64 v6, v6, v8, s[0:1]
	v_mul_f32_e32 v7, 0x37800000, v6
	v_cndmask_b32_e32 v6, v6, v7, vcc
	v_cmp_class_f32_e32 vcc, v4, v1
	v_cndmask_b32_e32 v4, v6, v4, vcc
	v_cmp_nge_f32_e32 vcc, 1.0, v4
	v_cndmask_b32_e32 v2, v5, v2, vcc
	s_cbranch_scc1 .LBB29_43
; %bb.44:
	v_mul_f32_e32 v1, 4.0, v2
	s_mov_b32 s4, 0x461c4000
	v_div_scale_f32 v2, s[0:1], s4, s4, v1
	v_rcp_f32_e32 v3, v2
	v_fma_f32 v4, -v2, v3, 1.0
	v_fmac_f32_e32 v3, v4, v3
	v_div_scale_f32 v4, vcc, v1, s4, v1
	v_mul_f32_e32 v5, v4, v3
	v_fma_f32 v6, -v2, v5, v4
	v_fmac_f32_e32 v5, v6, v3
	v_fma_f32 v2, -v2, v5, v4
	v_div_fmas_f32 v2, v2, v3, v5
	v_div_fixup_f32 v2, v2, s4, v1
.LBB29_45:
	s_or_b64 exec, exec, s[2:3]
	v_or_b32_e32 v1, 0x80, v0
	v_cmp_gt_u32_e64 s[0:1], s15, v1
	s_and_saveexec_b64 s[4:5], s[0:1]
	s_cbranch_execz .LBB29_49
; %bb.46:
	v_add_u32_e32 v1, s14, v1
	v_lshlrev_b32_e32 v3, 12, v1
	s_mov_b32 s2, 0x7ed55d16
	v_add3_u32 v1, v1, v3, s2
	v_lshrrev_b32_e32 v3, 19, v1
	v_xor_b32_e32 v1, v1, v3
	v_xor_b32_e32 v1, 0xc761c23c, v1
	v_lshl_add_u32 v1, v1, 5, v1
	v_mov_b32_e32 v6, 0xaccf6200
	v_add_u32_e32 v3, 0xe9f8cc1d, v1
	v_lshl_add_u32 v1, v1, 9, v6
	v_xor_b32_e32 v1, v3, v1
	v_lshlrev_b32_e32 v3, 3, v1
	s_mov_b32 s2, 0xfd7046c5
	v_add3_u32 v1, v1, v3, s2
	v_xor_b32_sdwa v1, v1, v1 dst_sel:DWORD dst_unused:UNUSED_PAD src0_sel:DWORD src1_sel:WORD_1
	v_xor_b32_e32 v1, 0xb55a4f09, v1
	v_mul_hi_u32 v3, v1, 3
	v_sub_u32_e32 v6, v1, v3
	v_lshrrev_b32_e32 v6, 1, v6
	v_add_u32_e32 v3, v6, v3
	v_lshrrev_b32_e32 v3, 30, v3
	s_brev_b32 s2, -2
	v_mul_lo_u32 v3, v3, s2
	v_sub_u32_e32 v1, v1, v3
	v_max_u32_e32 v6, 1, v1
	s_movk_i32 s8, 0x2710
	v_mov_b32_e32 v3, 0
	s_mov_b32 s9, 0xbc8f1391
	s_mov_b32 s12, 0xbc8f
	s_brev_b32 s13, 12
	s_mov_b32 s16, 0xf800000
	v_mov_b32_e32 v1, 0x260
.LBB29_47:                              ; =>This Inner Loop Header: Depth=1
	v_mul_hi_u32 v7, v6, s9
	v_lshrrev_b32_e32 v7, 15, v7
	v_mul_u32_u24_e32 v9, 0xadc8, v7
	v_sub_u32_e32 v6, v6, v9
	v_mul_u32_u24_e32 v7, 0xd47, v7
	v_mul_lo_u32 v6, v6, s12
	v_xor_b32_e32 v9, 0x7fffffff, v7
	v_sub_u32_e32 v10, 0, v7
	v_cmp_lt_u32_e32 vcc, v6, v7
	v_cndmask_b32_e32 v7, v10, v9, vcc
	v_add_u32_e32 v6, v7, v6
	v_mul_hi_u32 v9, v6, s9
	v_lshrrev_b32_e32 v9, 15, v9
	v_mul_u32_u24_e32 v10, 0xadc8, v9
	v_add_u32_e32 v7, -1, v6
	v_sub_u32_e32 v6, v6, v10
	v_mul_u32_u24_e32 v9, 0xd47, v9
	v_mul_lo_u32 v6, v6, s12
	v_xor_b32_e32 v10, 0x7fffffff, v9
	v_sub_u32_e32 v11, 0, v9
	v_cmp_lt_u32_e32 vcc, v6, v9
	v_cndmask_b32_e32 v9, v11, v10, vcc
	v_add_u32_e32 v6, v9, v6
	v_mul_hi_u32 v10, v6, s9
	v_add_u32_e32 v9, -1, v6
	v_lshrrev_b32_e32 v10, 15, v10
	v_cvt_f32_u32_e32 v9, v9
	v_mul_u32_u24_e32 v11, 0xadc8, v10
	v_cvt_f32_u32_e32 v7, v7
	v_sub_u32_e32 v6, v6, v11
	v_mul_u32_u24_e32 v10, 0xd47, v10
	v_mul_lo_u32 v6, v6, s12
	v_xor_b32_e32 v11, 0x7fffffff, v10
	v_sub_u32_e32 v12, 0, v10
	v_cmp_lt_u32_e32 vcc, v6, v10
	v_fma_f32 v9, v9, s13, 0
	v_cndmask_b32_e32 v10, v12, v11, vcc
	v_fma_f32 v7, v7, s13, 0
	v_mul_f32_e32 v9, v9, v9
	v_add_u32_e32 v6, v10, v6
	v_fmac_f32_e32 v9, v7, v7
	v_mul_hi_u32 v10, v6, s9
	v_mul_f32_e32 v11, 0x4f800000, v9
	v_lshrrev_b32_e32 v10, 15, v10
	v_cmp_gt_f32_e32 vcc, s16, v9
	v_cndmask_b32_e32 v9, v9, v11, vcc
	v_mul_u32_u24_e32 v11, 0xadc8, v10
	v_add_u32_e32 v7, -1, v6
	v_sqrt_f32_e32 v12, v9
	v_sub_u32_e32 v6, v6, v11
	v_mul_u32_u24_e32 v10, 0xd47, v10
	v_mul_lo_u32 v6, v6, s12
	v_xor_b32_e32 v11, 0x7fffffff, v10
	v_sub_u32_e32 v13, 0, v10
	v_cmp_lt_u32_e64 s[2:3], v6, v10
	v_cndmask_b32_e64 v10, v13, v11, s[2:3]
	v_add_u32_e32 v6, v10, v6
	v_add_u32_e32 v10, -1, v12
	v_add_u32_e32 v11, 1, v12
	v_add_u32_e32 v13, -1, v6
	v_fma_f32 v14, -v10, v12, v9
	v_fma_f32 v15, -v11, v12, v9
	v_cvt_f32_u32_e32 v13, v13
	v_cmp_ge_f32_e64 s[2:3], 0, v14
	v_cvt_f32_u32_e32 v7, v7
	v_cndmask_b32_e64 v10, v12, v10, s[2:3]
	v_cmp_lt_f32_e64 s[2:3], 0, v15
	v_cndmask_b32_e64 v10, v10, v11, s[2:3]
	v_mul_f32_e32 v11, 0x37800000, v10
	v_cndmask_b32_e32 v10, v10, v11, vcc
	v_fma_f32 v11, v13, s13, 0
	v_cmp_class_f32_e32 vcc, v9, v1
	v_fma_f32 v7, v7, s13, 0
	v_cndmask_b32_e32 v9, v10, v9, vcc
	v_mul_f32_e32 v10, v11, v11
	v_add_f32_e32 v8, 1.0, v3
	v_cmp_nge_f32_e32 vcc, 1.0, v9
	v_fmac_f32_e32 v10, v7, v7
	v_cndmask_b32_e32 v3, v8, v3, vcc
	v_mul_f32_e32 v7, 0x4f800000, v10
	v_cmp_gt_f32_e32 vcc, s16, v10
	v_cndmask_b32_e32 v7, v10, v7, vcc
	v_sqrt_f32_e32 v9, v7
	s_add_i32 s8, s8, -2
	v_add_f32_e32 v8, 1.0, v3
	s_cmp_lg_u32 s8, 0
	v_add_u32_e32 v10, -1, v9
	v_add_u32_e32 v11, 1, v9
	v_fma_f32 v12, -v10, v9, v7
	v_fma_f32 v13, -v11, v9, v7
	v_cmp_ge_f32_e64 s[2:3], 0, v12
	v_cndmask_b32_e64 v9, v9, v10, s[2:3]
	v_cmp_lt_f32_e64 s[2:3], 0, v13
	v_cndmask_b32_e64 v9, v9, v11, s[2:3]
	v_mul_f32_e32 v10, 0x37800000, v9
	v_cndmask_b32_e32 v9, v9, v10, vcc
	v_cmp_class_f32_e32 vcc, v7, v1
	v_cndmask_b32_e32 v7, v9, v7, vcc
	v_cmp_nge_f32_e32 vcc, 1.0, v7
	v_cndmask_b32_e32 v3, v8, v3, vcc
	s_cbranch_scc1 .LBB29_47
; %bb.48:
	v_mul_f32_e32 v1, 4.0, v3
	s_mov_b32 s8, 0x461c4000
	v_div_scale_f32 v3, s[2:3], s8, s8, v1
	v_rcp_f32_e32 v6, v3
	v_fma_f32 v7, -v3, v6, 1.0
	v_fmac_f32_e32 v6, v7, v6
	v_div_scale_f32 v7, vcc, v1, s8, v1
	v_mul_f32_e32 v8, v7, v6
	v_fma_f32 v9, -v3, v8, v7
	v_fmac_f32_e32 v8, v9, v6
	v_fma_f32 v3, -v3, v8, v7
	v_div_fmas_f32 v3, v3, v6, v8
	v_div_fixup_f32 v3, v3, s8, v1
.LBB29_49:
	s_or_b64 exec, exec, s[4:5]
	v_or_b32_e32 v1, 0x100, v0
	v_cmp_gt_u32_e64 s[2:3], s15, v1
	s_and_saveexec_b64 s[8:9], s[2:3]
	s_cbranch_execz .LBB29_53
; %bb.50:
	v_add_u32_e32 v1, s14, v1
	v_lshlrev_b32_e32 v4, 12, v1
	s_mov_b32 s4, 0x7ed55d16
	v_add3_u32 v1, v1, v4, s4
	v_lshrrev_b32_e32 v4, 19, v1
	v_xor_b32_e32 v1, v1, v4
	v_xor_b32_e32 v1, 0xc761c23c, v1
	v_lshl_add_u32 v1, v1, 5, v1
	v_mov_b32_e32 v6, 0xaccf6200
	v_add_u32_e32 v4, 0xe9f8cc1d, v1
	v_lshl_add_u32 v1, v1, 9, v6
	v_xor_b32_e32 v1, v4, v1
	v_lshlrev_b32_e32 v4, 3, v1
	s_mov_b32 s4, 0xfd7046c5
	v_add3_u32 v1, v1, v4, s4
	v_xor_b32_sdwa v1, v1, v1 dst_sel:DWORD dst_unused:UNUSED_PAD src0_sel:DWORD src1_sel:WORD_1
	v_xor_b32_e32 v1, 0xb55a4f09, v1
	v_mul_hi_u32 v4, v1, 3
	v_sub_u32_e32 v6, v1, v4
	v_lshrrev_b32_e32 v6, 1, v6
	v_add_u32_e32 v4, v6, v4
	v_lshrrev_b32_e32 v4, 30, v4
	s_brev_b32 s4, -2
	v_mul_lo_u32 v4, v4, s4
	v_sub_u32_e32 v1, v1, v4
	v_max_u32_e32 v6, 1, v1
	s_movk_i32 s12, 0x2710
	v_mov_b32_e32 v4, 0
	s_mov_b32 s13, 0xbc8f1391
	s_mov_b32 s16, 0xbc8f
	s_brev_b32 s17, 12
	s_mov_b32 s22, 0xf800000
	v_mov_b32_e32 v1, 0x260
.LBB29_51:                              ; =>This Inner Loop Header: Depth=1
	v_mul_hi_u32 v7, v6, s13
	v_lshrrev_b32_e32 v7, 15, v7
	v_mul_u32_u24_e32 v9, 0xadc8, v7
	v_sub_u32_e32 v6, v6, v9
	v_mul_u32_u24_e32 v7, 0xd47, v7
	v_mul_lo_u32 v6, v6, s16
	v_xor_b32_e32 v9, 0x7fffffff, v7
	v_sub_u32_e32 v10, 0, v7
	v_cmp_lt_u32_e32 vcc, v6, v7
	v_cndmask_b32_e32 v7, v10, v9, vcc
	v_add_u32_e32 v6, v7, v6
	v_mul_hi_u32 v9, v6, s13
	v_lshrrev_b32_e32 v9, 15, v9
	v_mul_u32_u24_e32 v10, 0xadc8, v9
	v_add_u32_e32 v7, -1, v6
	v_sub_u32_e32 v6, v6, v10
	v_mul_u32_u24_e32 v9, 0xd47, v9
	v_mul_lo_u32 v6, v6, s16
	v_xor_b32_e32 v10, 0x7fffffff, v9
	v_sub_u32_e32 v11, 0, v9
	v_cmp_lt_u32_e32 vcc, v6, v9
	v_cndmask_b32_e32 v9, v11, v10, vcc
	v_add_u32_e32 v6, v9, v6
	v_mul_hi_u32 v10, v6, s13
	v_add_u32_e32 v9, -1, v6
	v_lshrrev_b32_e32 v10, 15, v10
	v_cvt_f32_u32_e32 v9, v9
	v_mul_u32_u24_e32 v11, 0xadc8, v10
	v_cvt_f32_u32_e32 v7, v7
	v_sub_u32_e32 v6, v6, v11
	v_mul_u32_u24_e32 v10, 0xd47, v10
	v_mul_lo_u32 v6, v6, s16
	v_xor_b32_e32 v11, 0x7fffffff, v10
	v_sub_u32_e32 v12, 0, v10
	v_cmp_lt_u32_e32 vcc, v6, v10
	v_fma_f32 v9, v9, s17, 0
	v_cndmask_b32_e32 v10, v12, v11, vcc
	v_fma_f32 v7, v7, s17, 0
	v_mul_f32_e32 v9, v9, v9
	v_add_u32_e32 v6, v10, v6
	v_fmac_f32_e32 v9, v7, v7
	v_mul_hi_u32 v10, v6, s13
	v_mul_f32_e32 v11, 0x4f800000, v9
	v_lshrrev_b32_e32 v10, 15, v10
	v_cmp_gt_f32_e32 vcc, s22, v9
	v_cndmask_b32_e32 v9, v9, v11, vcc
	v_mul_u32_u24_e32 v11, 0xadc8, v10
	v_add_u32_e32 v7, -1, v6
	v_sqrt_f32_e32 v12, v9
	v_sub_u32_e32 v6, v6, v11
	v_mul_u32_u24_e32 v10, 0xd47, v10
	v_mul_lo_u32 v6, v6, s16
	v_xor_b32_e32 v11, 0x7fffffff, v10
	v_sub_u32_e32 v13, 0, v10
	v_cmp_lt_u32_e64 s[4:5], v6, v10
	v_cndmask_b32_e64 v10, v13, v11, s[4:5]
	v_add_u32_e32 v6, v10, v6
	v_add_u32_e32 v10, -1, v12
	v_add_u32_e32 v11, 1, v12
	v_add_u32_e32 v13, -1, v6
	v_fma_f32 v14, -v10, v12, v9
	v_fma_f32 v15, -v11, v12, v9
	v_cvt_f32_u32_e32 v13, v13
	v_cmp_ge_f32_e64 s[4:5], 0, v14
	v_cvt_f32_u32_e32 v7, v7
	v_cndmask_b32_e64 v10, v12, v10, s[4:5]
	v_cmp_lt_f32_e64 s[4:5], 0, v15
	v_cndmask_b32_e64 v10, v10, v11, s[4:5]
	v_mul_f32_e32 v11, 0x37800000, v10
	v_cndmask_b32_e32 v10, v10, v11, vcc
	v_fma_f32 v11, v13, s17, 0
	v_cmp_class_f32_e32 vcc, v9, v1
	v_fma_f32 v7, v7, s17, 0
	v_cndmask_b32_e32 v9, v10, v9, vcc
	v_mul_f32_e32 v10, v11, v11
	v_add_f32_e32 v8, 1.0, v4
	v_cmp_nge_f32_e32 vcc, 1.0, v9
	v_fmac_f32_e32 v10, v7, v7
	v_cndmask_b32_e32 v4, v8, v4, vcc
	v_mul_f32_e32 v7, 0x4f800000, v10
	v_cmp_gt_f32_e32 vcc, s22, v10
	v_cndmask_b32_e32 v7, v10, v7, vcc
	v_sqrt_f32_e32 v9, v7
	s_add_i32 s12, s12, -2
	v_add_f32_e32 v8, 1.0, v4
	s_cmp_lg_u32 s12, 0
	v_add_u32_e32 v10, -1, v9
	v_add_u32_e32 v11, 1, v9
	v_fma_f32 v12, -v10, v9, v7
	v_fma_f32 v13, -v11, v9, v7
	v_cmp_ge_f32_e64 s[4:5], 0, v12
	v_cndmask_b32_e64 v9, v9, v10, s[4:5]
	v_cmp_lt_f32_e64 s[4:5], 0, v13
	v_cndmask_b32_e64 v9, v9, v11, s[4:5]
	v_mul_f32_e32 v10, 0x37800000, v9
	v_cndmask_b32_e32 v9, v9, v10, vcc
	v_cmp_class_f32_e32 vcc, v7, v1
	v_cndmask_b32_e32 v7, v9, v7, vcc
	v_cmp_nge_f32_e32 vcc, 1.0, v7
	v_cndmask_b32_e32 v4, v8, v4, vcc
	s_cbranch_scc1 .LBB29_51
; %bb.52:
	v_mul_f32_e32 v1, 4.0, v4
	s_mov_b32 s12, 0x461c4000
	v_div_scale_f32 v4, s[4:5], s12, s12, v1
	v_rcp_f32_e32 v6, v4
	v_fma_f32 v7, -v4, v6, 1.0
	v_fmac_f32_e32 v6, v7, v6
	v_div_scale_f32 v7, vcc, v1, s12, v1
	v_mul_f32_e32 v8, v7, v6
	v_fma_f32 v9, -v4, v8, v7
	v_fmac_f32_e32 v8, v9, v6
	v_fma_f32 v4, -v4, v8, v7
	v_div_fmas_f32 v4, v4, v6, v8
	v_div_fixup_f32 v4, v4, s12, v1
.LBB29_53:
	s_or_b64 exec, exec, s[8:9]
	v_or_b32_e32 v1, 0x180, v0
	v_cmp_gt_u32_e64 s[4:5], s15, v1
	s_and_saveexec_b64 s[12:13], s[4:5]
	s_cbranch_execz .LBB29_57
; %bb.54:
	v_add_u32_e32 v1, s14, v1
	v_lshlrev_b32_e32 v5, 12, v1
	s_mov_b32 s8, 0x7ed55d16
	v_add3_u32 v1, v1, v5, s8
	v_lshrrev_b32_e32 v5, 19, v1
	v_xor_b32_e32 v1, v1, v5
	v_xor_b32_e32 v1, 0xc761c23c, v1
	v_lshl_add_u32 v1, v1, 5, v1
	v_mov_b32_e32 v6, 0xaccf6200
	v_add_u32_e32 v5, 0xe9f8cc1d, v1
	v_lshl_add_u32 v1, v1, 9, v6
	v_xor_b32_e32 v1, v5, v1
	v_lshlrev_b32_e32 v5, 3, v1
	s_mov_b32 s8, 0xfd7046c5
	v_add3_u32 v1, v1, v5, s8
	v_xor_b32_sdwa v1, v1, v1 dst_sel:DWORD dst_unused:UNUSED_PAD src0_sel:DWORD src1_sel:WORD_1
	v_xor_b32_e32 v1, 0xb55a4f09, v1
	v_mul_hi_u32 v5, v1, 3
	v_sub_u32_e32 v6, v1, v5
	v_lshrrev_b32_e32 v6, 1, v6
	v_add_u32_e32 v5, v6, v5
	v_lshrrev_b32_e32 v5, 30, v5
	s_brev_b32 s8, -2
	v_mul_lo_u32 v5, v5, s8
	v_sub_u32_e32 v1, v1, v5
	v_max_u32_e32 v6, 1, v1
	s_movk_i32 s14, 0x2710
	v_mov_b32_e32 v5, 0
	s_mov_b32 s16, 0xbc8f1391
	s_mov_b32 s17, 0xbc8f
	s_brev_b32 s22, 12
	s_mov_b32 s23, 0xf800000
	v_mov_b32_e32 v1, 0x260
.LBB29_55:                              ; =>This Inner Loop Header: Depth=1
	v_mul_hi_u32 v7, v6, s16
	v_lshrrev_b32_e32 v7, 15, v7
	v_mul_u32_u24_e32 v9, 0xadc8, v7
	v_sub_u32_e32 v6, v6, v9
	v_mul_u32_u24_e32 v7, 0xd47, v7
	v_mul_lo_u32 v6, v6, s17
	v_xor_b32_e32 v9, 0x7fffffff, v7
	v_sub_u32_e32 v10, 0, v7
	v_cmp_lt_u32_e32 vcc, v6, v7
	v_cndmask_b32_e32 v7, v10, v9, vcc
	v_add_u32_e32 v6, v7, v6
	v_mul_hi_u32 v9, v6, s16
	v_lshrrev_b32_e32 v9, 15, v9
	v_mul_u32_u24_e32 v10, 0xadc8, v9
	v_add_u32_e32 v7, -1, v6
	v_sub_u32_e32 v6, v6, v10
	v_mul_u32_u24_e32 v9, 0xd47, v9
	v_mul_lo_u32 v6, v6, s17
	v_xor_b32_e32 v10, 0x7fffffff, v9
	v_sub_u32_e32 v11, 0, v9
	v_cmp_lt_u32_e32 vcc, v6, v9
	v_cndmask_b32_e32 v9, v11, v10, vcc
	v_add_u32_e32 v6, v9, v6
	v_mul_hi_u32 v10, v6, s16
	v_add_u32_e32 v9, -1, v6
	v_lshrrev_b32_e32 v10, 15, v10
	v_cvt_f32_u32_e32 v9, v9
	v_mul_u32_u24_e32 v11, 0xadc8, v10
	v_cvt_f32_u32_e32 v7, v7
	v_sub_u32_e32 v6, v6, v11
	v_mul_u32_u24_e32 v10, 0xd47, v10
	v_mul_lo_u32 v6, v6, s17
	v_xor_b32_e32 v11, 0x7fffffff, v10
	v_sub_u32_e32 v12, 0, v10
	v_cmp_lt_u32_e32 vcc, v6, v10
	v_fma_f32 v9, v9, s22, 0
	v_cndmask_b32_e32 v10, v12, v11, vcc
	v_fma_f32 v7, v7, s22, 0
	v_mul_f32_e32 v9, v9, v9
	v_add_u32_e32 v6, v10, v6
	v_fmac_f32_e32 v9, v7, v7
	v_mul_hi_u32 v10, v6, s16
	v_mul_f32_e32 v11, 0x4f800000, v9
	v_lshrrev_b32_e32 v10, 15, v10
	v_cmp_gt_f32_e32 vcc, s23, v9
	v_cndmask_b32_e32 v9, v9, v11, vcc
	v_mul_u32_u24_e32 v11, 0xadc8, v10
	v_add_u32_e32 v7, -1, v6
	v_sqrt_f32_e32 v12, v9
	v_sub_u32_e32 v6, v6, v11
	v_mul_u32_u24_e32 v10, 0xd47, v10
	v_mul_lo_u32 v6, v6, s17
	v_xor_b32_e32 v11, 0x7fffffff, v10
	v_sub_u32_e32 v13, 0, v10
	v_cmp_lt_u32_e64 s[8:9], v6, v10
	v_cndmask_b32_e64 v10, v13, v11, s[8:9]
	v_add_u32_e32 v6, v10, v6
	v_add_u32_e32 v10, -1, v12
	v_add_u32_e32 v11, 1, v12
	v_add_u32_e32 v13, -1, v6
	v_fma_f32 v14, -v10, v12, v9
	v_fma_f32 v15, -v11, v12, v9
	v_cvt_f32_u32_e32 v13, v13
	v_cmp_ge_f32_e64 s[8:9], 0, v14
	v_cvt_f32_u32_e32 v7, v7
	v_cndmask_b32_e64 v10, v12, v10, s[8:9]
	v_cmp_lt_f32_e64 s[8:9], 0, v15
	v_cndmask_b32_e64 v10, v10, v11, s[8:9]
	v_mul_f32_e32 v11, 0x37800000, v10
	v_cndmask_b32_e32 v10, v10, v11, vcc
	v_fma_f32 v11, v13, s22, 0
	v_cmp_class_f32_e32 vcc, v9, v1
	v_fma_f32 v7, v7, s22, 0
	v_cndmask_b32_e32 v9, v10, v9, vcc
	v_mul_f32_e32 v10, v11, v11
	v_add_f32_e32 v8, 1.0, v5
	v_cmp_nge_f32_e32 vcc, 1.0, v9
	v_fmac_f32_e32 v10, v7, v7
	v_cndmask_b32_e32 v5, v8, v5, vcc
	v_mul_f32_e32 v7, 0x4f800000, v10
	v_cmp_gt_f32_e32 vcc, s23, v10
	v_cndmask_b32_e32 v7, v10, v7, vcc
	v_sqrt_f32_e32 v9, v7
	s_add_i32 s14, s14, -2
	v_add_f32_e32 v8, 1.0, v5
	s_cmp_lg_u32 s14, 0
	v_add_u32_e32 v10, -1, v9
	v_add_u32_e32 v11, 1, v9
	v_fma_f32 v12, -v10, v9, v7
	v_fma_f32 v13, -v11, v9, v7
	v_cmp_ge_f32_e64 s[8:9], 0, v12
	v_cndmask_b32_e64 v9, v9, v10, s[8:9]
	v_cmp_lt_f32_e64 s[8:9], 0, v13
	v_cndmask_b32_e64 v9, v9, v11, s[8:9]
	v_mul_f32_e32 v10, 0x37800000, v9
	v_cndmask_b32_e32 v9, v9, v10, vcc
	v_cmp_class_f32_e32 vcc, v7, v1
	v_cndmask_b32_e32 v7, v9, v7, vcc
	v_cmp_nge_f32_e32 vcc, 1.0, v7
	v_cndmask_b32_e32 v5, v8, v5, vcc
	s_cbranch_scc1 .LBB29_55
; %bb.56:
	v_mul_f32_e32 v1, 4.0, v5
	s_mov_b32 s14, 0x461c4000
	v_div_scale_f32 v5, s[8:9], s14, s14, v1
	v_rcp_f32_e32 v6, v5
	v_fma_f32 v7, -v5, v6, 1.0
	v_fmac_f32_e32 v6, v7, v6
	v_div_scale_f32 v7, vcc, v1, s14, v1
	v_mul_f32_e32 v8, v7, v6
	v_fma_f32 v9, -v5, v8, v7
	v_fmac_f32_e32 v8, v9, v6
	v_fma_f32 v5, -v5, v8, v7
	v_div_fmas_f32 v5, v5, v6, v8
	v_div_fixup_f32 v5, v5, s14, v1
.LBB29_57:
	s_or_b64 exec, exec, s[12:13]
	v_add_f32_e32 v1, v2, v3
	v_cndmask_b32_e64 v1, v2, v1, s[0:1]
	v_add_f32_e32 v2, v4, v1
	v_cndmask_b32_e64 v1, v1, v2, s[2:3]
	;; [unrolled: 2-line block ×3, first 2 shown]
	v_mbcnt_lo_u32_b32 v1, -1, 0
	v_mbcnt_hi_u32_b32 v1, -1, v1
	v_and_b32_e32 v3, 63, v1
	v_cmp_ne_u32_e32 vcc, 63, v3
	v_addc_co_u32_e32 v4, vcc, 0, v1, vcc
	v_lshlrev_b32_e32 v4, 2, v4
	ds_bpermute_b32 v4, v4, v2
	s_min_u32 s2, s15, 0x80
	v_and_b32_e32 v5, 64, v0
	v_sub_u32_e64 v5, s2, v5 clamp
	v_add_u32_e32 v6, 1, v3
	v_cmp_gt_u32_e64 s[0:1], 62, v3
	v_cmp_lt_u32_e32 vcc, v6, v5
	v_cndmask_b32_e64 v6, 0, 1, s[0:1]
	s_waitcnt lgkmcnt(0)
	v_add_f32_e32 v4, v2, v4
	v_lshlrev_b32_e32 v6, 1, v6
	v_cndmask_b32_e32 v4, v2, v4, vcc
	v_add_lshl_u32 v6, v6, v1, 2
	ds_bpermute_b32 v6, v6, v4
	v_add_u32_e32 v7, 2, v3
	v_cmp_lt_u32_e64 s[0:1], v7, v5
	v_add_u32_e32 v7, 4, v3
	s_waitcnt lgkmcnt(0)
	v_add_f32_e32 v6, v4, v6
	v_cndmask_b32_e64 v4, v4, v6, s[0:1]
	v_cmp_gt_u32_e64 s[0:1], 60, v3
	v_cndmask_b32_e64 v6, 0, 1, s[0:1]
	v_lshlrev_b32_e32 v6, 2, v6
	v_add_lshl_u32 v6, v6, v1, 2
	ds_bpermute_b32 v6, v6, v4
	v_cmp_lt_u32_e64 s[0:1], v7, v5
	v_add_u32_e32 v7, 8, v3
	s_waitcnt lgkmcnt(0)
	v_add_f32_e32 v6, v4, v6
	v_cndmask_b32_e64 v4, v4, v6, s[0:1]
	v_cmp_gt_u32_e64 s[0:1], 56, v3
	v_cndmask_b32_e64 v6, 0, 1, s[0:1]
	v_lshlrev_b32_e32 v6, 3, v6
	v_add_lshl_u32 v6, v6, v1, 2
	ds_bpermute_b32 v6, v6, v4
	;; [unrolled: 10-line block ×3, first 2 shown]
	v_cmp_lt_u32_e64 s[0:1], v7, v5
	s_waitcnt lgkmcnt(0)
	v_add_f32_e32 v6, v4, v6
	v_cndmask_b32_e64 v4, v4, v6, s[0:1]
	v_cmp_gt_u32_e64 s[0:1], 32, v3
	v_cndmask_b32_e64 v6, 0, 1, s[0:1]
	v_lshlrev_b32_e32 v6, 5, v6
	v_add_lshl_u32 v6, v6, v1, 2
	ds_bpermute_b32 v6, v6, v4
	v_add_u32_e32 v3, 32, v3
	v_cmp_lt_u32_e64 s[0:1], v3, v5
	s_waitcnt lgkmcnt(0)
	v_add_f32_e32 v6, v4, v6
	v_cndmask_b32_e64 v3, v4, v6, s[0:1]
	v_cndmask_b32_e32 v2, v2, v3, vcc
	v_cmp_eq_u32_e32 vcc, 0, v1
	s_and_saveexec_b64 s[0:1], vcc
	s_cbranch_execz .LBB29_59
; %bb.58:
	v_lshrrev_b32_e32 v3, 4, v0
	v_and_b32_e32 v3, 4, v3
	ds_write_b32 v3, v2 offset:48
.LBB29_59:
	s_or_b64 exec, exec, s[0:1]
	v_cmp_gt_u32_e32 vcc, 2, v0
	s_waitcnt lgkmcnt(0)
	s_barrier
	s_and_saveexec_b64 s[0:1], vcc
	s_cbranch_execz .LBB29_61
; %bb.60:
	v_lshlrev_b32_e32 v2, 2, v1
	ds_read_b32 v3, v2 offset:48
	v_or_b32_e32 v2, 4, v2
	s_add_i32 s2, s2, 63
	v_and_b32_e32 v1, 1, v1
	s_lshr_b32 s2, s2, 6
	s_waitcnt lgkmcnt(0)
	ds_bpermute_b32 v2, v2, v3
	v_add_u32_e32 v1, 1, v1
	v_cmp_gt_u32_e32 vcc, s2, v1
	s_waitcnt lgkmcnt(0)
	v_add_f32_e32 v2, v3, v2
	v_cndmask_b32_e32 v2, v3, v2, vcc
.LBB29_61:
	s_or_b64 exec, exec, s[0:1]
	v_cmp_eq_u32_e32 vcc, 0, v0
	s_and_saveexec_b64 s[0:1], vcc
	s_cbranch_execz .LBB29_38
.LBB29_62:
	s_cmp_eq_u64 s[68:69], 0
	s_cselect_b64 vcc, -1, 0
	s_lshl_b64 s[2:3], s[6:7], 2
	v_add_f32_e32 v1, s33, v2
	v_mov_b32_e32 v2, s33
	s_add_u32 s2, s70, s2
	v_cndmask_b32_e32 v1, v1, v2, vcc
	s_addc_u32 s3, s71, s3
	v_mov_b32_e32 v2, 0
	global_store_dword v2, v1, s[2:3]
	s_or_b64 exec, exec, s[0:1]
	s_cmp_lt_i32 s72, 16
	s_cbranch_scc0 .LBB29_39
.LBB29_63:
	s_mov_b64 s[0:1], -1
	s_branch .LBB29_68
.LBB29_64:
	s_mov_b64 s[0:1], -1
.LBB29_65:
	s_andn2_b64 vcc, exec, s[0:1]
	s_cbranch_vccnz .LBB29_67
; %bb.66:
	s_cmp_eq_u32 s72, 16
	s_cselect_b64 s[20:21], -1, 0
.LBB29_67:
	s_mov_b64 s[0:1], 0
.LBB29_68:
	s_and_b64 vcc, exec, s[0:1]
	s_cbranch_vccz .LBB29_70
; %bb.69:
	s_cmp_eq_u32 s72, 8
	s_cselect_b64 s[10:11], -1, 0
.LBB29_70:
	s_mov_b64 s[76:77], 0
	s_mov_b64 s[74:75], 0
	s_and_b64 vcc, exec, s[10:11]
	s_cbranch_vccz .LBB29_137
.LBB29_71:
	s_lshl_b32 s2, s6, 10
	s_lshr_b64 s[0:1], s[68:69], 10
	s_add_i32 s24, s73, s2
	s_cmp_lg_u64 s[0:1], s[6:7]
	s_cbranch_scc0 .LBB29_93
; %bb.72:
	v_add_u32_e32 v2, s24, v0
	v_lshlrev_b32_e32 v1, 12, v2
	s_mov_b32 s0, 0x7ed55d16
	v_add3_u32 v1, v2, v1, s0
	v_lshrrev_b32_e32 v3, 19, v1
	v_xor_b32_e32 v1, v1, v3
	v_xor_b32_e32 v1, 0xc761c23c, v1
	v_lshl_add_u32 v1, v1, 5, v1
	v_mov_b32_e32 v4, 0xaccf6200
	v_add_u32_e32 v3, 0xe9f8cc1d, v1
	v_lshl_add_u32 v1, v1, 9, v4
	v_xor_b32_e32 v1, v3, v1
	v_lshlrev_b32_e32 v3, 3, v1
	s_mov_b32 s0, 0xfd7046c5
	v_add3_u32 v1, v1, v3, s0
	v_xor_b32_sdwa v1, v1, v1 dst_sel:DWORD dst_unused:UNUSED_PAD src0_sel:DWORD src1_sel:WORD_1
	v_xor_b32_e32 v1, 0xb55a4f09, v1
	v_mul_hi_u32 v3, v1, 3
	v_sub_u32_e32 v4, v1, v3
	v_lshrrev_b32_e32 v4, 1, v4
	v_add_u32_e32 v3, v4, v3
	v_lshrrev_b32_e32 v3, 30, v3
	s_brev_b32 s0, -2
	v_mul_lo_u32 v3, v3, s0
	v_sub_u32_e32 v1, v1, v3
	v_max_u32_e32 v4, 1, v1
	s_movk_i32 s3, 0x2710
	v_mov_b32_e32 v1, 0
	s_mov_b32 s4, 0xbc8f1391
	s_mov_b32 s5, 0xbc8f
	s_brev_b32 s8, 12
	s_mov_b32 s9, 0xf800000
	v_mov_b32_e32 v3, 0x260
.LBB29_73:                              ; =>This Inner Loop Header: Depth=1
	v_mul_hi_u32 v5, v4, s4
	v_lshrrev_b32_e32 v5, 15, v5
	v_mul_u32_u24_e32 v7, 0xadc8, v5
	v_sub_u32_e32 v4, v4, v7
	v_mul_u32_u24_e32 v5, 0xd47, v5
	v_mul_lo_u32 v4, v4, s5
	v_xor_b32_e32 v7, 0x7fffffff, v5
	v_sub_u32_e32 v8, 0, v5
	v_cmp_lt_u32_e32 vcc, v4, v5
	v_cndmask_b32_e32 v5, v8, v7, vcc
	v_add_u32_e32 v4, v5, v4
	v_mul_hi_u32 v7, v4, s4
	v_lshrrev_b32_e32 v7, 15, v7
	v_mul_u32_u24_e32 v8, 0xadc8, v7
	v_add_u32_e32 v5, -1, v4
	v_sub_u32_e32 v4, v4, v8
	v_mul_u32_u24_e32 v7, 0xd47, v7
	v_mul_lo_u32 v4, v4, s5
	v_xor_b32_e32 v8, 0x7fffffff, v7
	v_sub_u32_e32 v9, 0, v7
	v_cmp_lt_u32_e32 vcc, v4, v7
	v_cndmask_b32_e32 v7, v9, v8, vcc
	v_add_u32_e32 v4, v7, v4
	v_mul_hi_u32 v8, v4, s4
	v_add_u32_e32 v7, -1, v4
	v_lshrrev_b32_e32 v8, 15, v8
	v_cvt_f32_u32_e32 v7, v7
	v_mul_u32_u24_e32 v9, 0xadc8, v8
	v_cvt_f32_u32_e32 v5, v5
	v_sub_u32_e32 v4, v4, v9
	v_mul_u32_u24_e32 v8, 0xd47, v8
	v_mul_lo_u32 v4, v4, s5
	v_xor_b32_e32 v9, 0x7fffffff, v8
	v_sub_u32_e32 v10, 0, v8
	v_cmp_lt_u32_e32 vcc, v4, v8
	v_fma_f32 v7, v7, s8, 0
	v_cndmask_b32_e32 v8, v10, v9, vcc
	v_fma_f32 v5, v5, s8, 0
	v_mul_f32_e32 v7, v7, v7
	v_add_u32_e32 v4, v8, v4
	v_fmac_f32_e32 v7, v5, v5
	v_mul_hi_u32 v8, v4, s4
	v_mul_f32_e32 v9, 0x4f800000, v7
	v_lshrrev_b32_e32 v8, 15, v8
	v_cmp_gt_f32_e32 vcc, s9, v7
	v_cndmask_b32_e32 v7, v7, v9, vcc
	v_mul_u32_u24_e32 v9, 0xadc8, v8
	v_add_u32_e32 v5, -1, v4
	v_sqrt_f32_e32 v10, v7
	v_sub_u32_e32 v4, v4, v9
	v_mul_u32_u24_e32 v8, 0xd47, v8
	v_mul_lo_u32 v4, v4, s5
	v_xor_b32_e32 v9, 0x7fffffff, v8
	v_sub_u32_e32 v11, 0, v8
	v_cmp_lt_u32_e64 s[0:1], v4, v8
	v_cndmask_b32_e64 v8, v11, v9, s[0:1]
	v_add_u32_e32 v4, v8, v4
	v_add_u32_e32 v8, -1, v10
	v_add_u32_e32 v9, 1, v10
	v_add_u32_e32 v11, -1, v4
	v_fma_f32 v12, -v8, v10, v7
	v_fma_f32 v13, -v9, v10, v7
	v_cvt_f32_u32_e32 v11, v11
	v_cmp_ge_f32_e64 s[0:1], 0, v12
	v_cvt_f32_u32_e32 v5, v5
	v_cndmask_b32_e64 v8, v10, v8, s[0:1]
	v_cmp_lt_f32_e64 s[0:1], 0, v13
	v_cndmask_b32_e64 v8, v8, v9, s[0:1]
	v_mul_f32_e32 v9, 0x37800000, v8
	v_cndmask_b32_e32 v8, v8, v9, vcc
	v_fma_f32 v9, v11, s8, 0
	v_cmp_class_f32_e32 vcc, v7, v3
	v_fma_f32 v5, v5, s8, 0
	v_cndmask_b32_e32 v7, v8, v7, vcc
	v_mul_f32_e32 v8, v9, v9
	v_add_f32_e32 v6, 1.0, v1
	v_cmp_nge_f32_e32 vcc, 1.0, v7
	v_fmac_f32_e32 v8, v5, v5
	v_cndmask_b32_e32 v1, v6, v1, vcc
	v_mul_f32_e32 v5, 0x4f800000, v8
	v_cmp_gt_f32_e32 vcc, s9, v8
	v_cndmask_b32_e32 v5, v8, v5, vcc
	v_sqrt_f32_e32 v7, v5
	s_add_i32 s3, s3, -2
	v_add_f32_e32 v6, 1.0, v1
	s_cmp_lg_u32 s3, 0
	v_add_u32_e32 v8, -1, v7
	v_add_u32_e32 v9, 1, v7
	v_fma_f32 v10, -v8, v7, v5
	v_fma_f32 v11, -v9, v7, v5
	v_cmp_ge_f32_e64 s[0:1], 0, v10
	v_cndmask_b32_e64 v7, v7, v8, s[0:1]
	v_cmp_lt_f32_e64 s[0:1], 0, v11
	v_cndmask_b32_e64 v7, v7, v9, s[0:1]
	v_mul_f32_e32 v8, 0x37800000, v7
	v_cndmask_b32_e32 v7, v7, v8, vcc
	v_cmp_class_f32_e32 vcc, v5, v3
	v_cndmask_b32_e32 v5, v7, v5, vcc
	v_cmp_nge_f32_e32 vcc, 1.0, v5
	v_cndmask_b32_e32 v1, v6, v1, vcc
	s_cbranch_scc1 .LBB29_73
; %bb.74:
	v_lshl_add_u32 v3, v2, 12, v2
	v_add_u32_e32 v2, 0x7edd5d96, v3
	v_lshrrev_b32_e32 v4, 19, v2
	v_xor_b32_e32 v2, v2, v4
	v_xor_b32_e32 v2, 0xc761c23c, v2
	v_lshl_add_u32 v2, v2, 5, v2
	v_mov_b32_e32 v5, 0xaccf6200
	v_add_u32_e32 v4, 0xe9f8cc1d, v2
	v_lshl_add_u32 v2, v2, 9, v5
	v_xor_b32_e32 v2, v4, v2
	v_lshlrev_b32_e32 v4, 3, v2
	s_mov_b32 s0, 0xfd7046c5
	v_add3_u32 v2, v2, v4, s0
	v_xor_b32_sdwa v2, v2, v2 dst_sel:DWORD dst_unused:UNUSED_PAD src0_sel:DWORD src1_sel:WORD_1
	v_xor_b32_e32 v2, 0xb55a4f09, v2
	v_mul_hi_u32 v4, v2, 3
	v_sub_u32_e32 v5, v2, v4
	v_lshrrev_b32_e32 v5, 1, v5
	v_add_u32_e32 v4, v5, v4
	v_lshrrev_b32_e32 v4, 30, v4
	s_brev_b32 s0, -2
	v_mul_lo_u32 v4, v4, s0
	v_sub_u32_e32 v2, v2, v4
	v_max_u32_e32 v5, 1, v2
	s_movk_i32 s3, 0x2710
	v_mov_b32_e32 v2, 0
	s_mov_b32 s4, 0xbc8f1391
	s_mov_b32 s5, 0xbc8f
	s_brev_b32 s8, 12
	s_mov_b32 s9, 0xf800000
	v_mov_b32_e32 v4, 0x260
.LBB29_75:                              ; =>This Inner Loop Header: Depth=1
	v_mul_hi_u32 v6, v5, s4
	v_lshrrev_b32_e32 v6, 15, v6
	v_mul_u32_u24_e32 v8, 0xadc8, v6
	v_sub_u32_e32 v5, v5, v8
	v_mul_u32_u24_e32 v6, 0xd47, v6
	v_mul_lo_u32 v5, v5, s5
	v_xor_b32_e32 v8, 0x7fffffff, v6
	v_sub_u32_e32 v9, 0, v6
	v_cmp_lt_u32_e32 vcc, v5, v6
	v_cndmask_b32_e32 v6, v9, v8, vcc
	v_add_u32_e32 v5, v6, v5
	v_mul_hi_u32 v8, v5, s4
	v_lshrrev_b32_e32 v8, 15, v8
	v_mul_u32_u24_e32 v9, 0xadc8, v8
	v_add_u32_e32 v6, -1, v5
	v_sub_u32_e32 v5, v5, v9
	v_mul_u32_u24_e32 v8, 0xd47, v8
	v_mul_lo_u32 v5, v5, s5
	v_xor_b32_e32 v9, 0x7fffffff, v8
	v_sub_u32_e32 v10, 0, v8
	v_cmp_lt_u32_e32 vcc, v5, v8
	v_cndmask_b32_e32 v8, v10, v9, vcc
	v_add_u32_e32 v5, v8, v5
	v_mul_hi_u32 v9, v5, s4
	v_add_u32_e32 v8, -1, v5
	v_lshrrev_b32_e32 v9, 15, v9
	v_cvt_f32_u32_e32 v8, v8
	v_mul_u32_u24_e32 v10, 0xadc8, v9
	v_cvt_f32_u32_e32 v6, v6
	v_sub_u32_e32 v5, v5, v10
	v_mul_u32_u24_e32 v9, 0xd47, v9
	v_mul_lo_u32 v5, v5, s5
	v_xor_b32_e32 v10, 0x7fffffff, v9
	v_sub_u32_e32 v11, 0, v9
	v_cmp_lt_u32_e32 vcc, v5, v9
	v_fma_f32 v8, v8, s8, 0
	v_cndmask_b32_e32 v9, v11, v10, vcc
	v_fma_f32 v6, v6, s8, 0
	v_mul_f32_e32 v8, v8, v8
	v_add_u32_e32 v5, v9, v5
	v_fmac_f32_e32 v8, v6, v6
	v_mul_hi_u32 v9, v5, s4
	v_mul_f32_e32 v10, 0x4f800000, v8
	v_lshrrev_b32_e32 v9, 15, v9
	v_cmp_gt_f32_e32 vcc, s9, v8
	v_cndmask_b32_e32 v8, v8, v10, vcc
	v_mul_u32_u24_e32 v10, 0xadc8, v9
	v_add_u32_e32 v6, -1, v5
	v_sqrt_f32_e32 v11, v8
	v_sub_u32_e32 v5, v5, v10
	v_mul_u32_u24_e32 v9, 0xd47, v9
	v_mul_lo_u32 v5, v5, s5
	v_xor_b32_e32 v10, 0x7fffffff, v9
	v_sub_u32_e32 v12, 0, v9
	v_cmp_lt_u32_e64 s[0:1], v5, v9
	v_cndmask_b32_e64 v9, v12, v10, s[0:1]
	v_add_u32_e32 v5, v9, v5
	v_add_u32_e32 v9, -1, v11
	v_add_u32_e32 v10, 1, v11
	v_add_u32_e32 v12, -1, v5
	v_fma_f32 v13, -v9, v11, v8
	v_fma_f32 v14, -v10, v11, v8
	v_cvt_f32_u32_e32 v12, v12
	v_cmp_ge_f32_e64 s[0:1], 0, v13
	v_cvt_f32_u32_e32 v6, v6
	v_cndmask_b32_e64 v9, v11, v9, s[0:1]
	v_cmp_lt_f32_e64 s[0:1], 0, v14
	v_cndmask_b32_e64 v9, v9, v10, s[0:1]
	v_mul_f32_e32 v10, 0x37800000, v9
	v_cndmask_b32_e32 v9, v9, v10, vcc
	v_fma_f32 v10, v12, s8, 0
	v_cmp_class_f32_e32 vcc, v8, v4
	v_fma_f32 v6, v6, s8, 0
	v_cndmask_b32_e32 v8, v9, v8, vcc
	v_mul_f32_e32 v9, v10, v10
	v_add_f32_e32 v7, 1.0, v2
	v_cmp_nge_f32_e32 vcc, 1.0, v8
	v_fmac_f32_e32 v9, v6, v6
	v_cndmask_b32_e32 v2, v7, v2, vcc
	v_mul_f32_e32 v6, 0x4f800000, v9
	v_cmp_gt_f32_e32 vcc, s9, v9
	v_cndmask_b32_e32 v6, v9, v6, vcc
	v_sqrt_f32_e32 v8, v6
	s_add_i32 s3, s3, -2
	v_add_f32_e32 v7, 1.0, v2
	s_cmp_lg_u32 s3, 0
	v_add_u32_e32 v9, -1, v8
	v_add_u32_e32 v10, 1, v8
	v_fma_f32 v11, -v9, v8, v6
	v_fma_f32 v12, -v10, v8, v6
	v_cmp_ge_f32_e64 s[0:1], 0, v11
	v_cndmask_b32_e64 v8, v8, v9, s[0:1]
	v_cmp_lt_f32_e64 s[0:1], 0, v12
	v_cndmask_b32_e64 v8, v8, v10, s[0:1]
	v_mul_f32_e32 v9, 0x37800000, v8
	v_cndmask_b32_e32 v8, v8, v9, vcc
	v_cmp_class_f32_e32 vcc, v6, v4
	v_cndmask_b32_e32 v6, v8, v6, vcc
	v_cmp_nge_f32_e32 vcc, 1.0, v6
	v_cndmask_b32_e32 v2, v7, v2, vcc
	s_cbranch_scc1 .LBB29_75
; %bb.76:
	v_add_u32_e32 v4, 0x7ee55e16, v3
	v_lshrrev_b32_e32 v5, 19, v4
	v_xor_b32_e32 v4, v4, v5
	v_xor_b32_e32 v4, 0xc761c23c, v4
	v_lshl_add_u32 v4, v4, 5, v4
	v_mov_b32_e32 v6, 0xaccf6200
	v_add_u32_e32 v5, 0xe9f8cc1d, v4
	v_lshl_add_u32 v4, v4, 9, v6
	v_xor_b32_e32 v4, v5, v4
	v_lshlrev_b32_e32 v5, 3, v4
	s_mov_b32 s0, 0xfd7046c5
	v_add3_u32 v4, v4, v5, s0
	v_xor_b32_sdwa v4, v4, v4 dst_sel:DWORD dst_unused:UNUSED_PAD src0_sel:DWORD src1_sel:WORD_1
	v_xor_b32_e32 v4, 0xb55a4f09, v4
	v_mul_hi_u32 v5, v4, 3
	v_sub_u32_e32 v6, v4, v5
	v_lshrrev_b32_e32 v6, 1, v6
	v_add_u32_e32 v5, v6, v5
	v_lshrrev_b32_e32 v5, 30, v5
	s_brev_b32 s0, -2
	v_mul_lo_u32 v5, v5, s0
	v_sub_u32_e32 v4, v4, v5
	v_max_u32_e32 v6, 1, v4
	s_movk_i32 s3, 0x2710
	v_mov_b32_e32 v4, 0
	s_mov_b32 s4, 0xbc8f1391
	s_mov_b32 s5, 0xbc8f
	s_brev_b32 s8, 12
	s_mov_b32 s9, 0xf800000
	v_mov_b32_e32 v5, 0x260
.LBB29_77:                              ; =>This Inner Loop Header: Depth=1
	v_mul_hi_u32 v7, v6, s4
	v_lshrrev_b32_e32 v7, 15, v7
	v_mul_u32_u24_e32 v9, 0xadc8, v7
	v_sub_u32_e32 v6, v6, v9
	v_mul_u32_u24_e32 v7, 0xd47, v7
	v_mul_lo_u32 v6, v6, s5
	v_xor_b32_e32 v9, 0x7fffffff, v7
	v_sub_u32_e32 v10, 0, v7
	v_cmp_lt_u32_e32 vcc, v6, v7
	v_cndmask_b32_e32 v7, v10, v9, vcc
	v_add_u32_e32 v6, v7, v6
	v_mul_hi_u32 v9, v6, s4
	v_lshrrev_b32_e32 v9, 15, v9
	v_mul_u32_u24_e32 v10, 0xadc8, v9
	v_add_u32_e32 v7, -1, v6
	v_sub_u32_e32 v6, v6, v10
	v_mul_u32_u24_e32 v9, 0xd47, v9
	v_mul_lo_u32 v6, v6, s5
	v_xor_b32_e32 v10, 0x7fffffff, v9
	v_sub_u32_e32 v11, 0, v9
	v_cmp_lt_u32_e32 vcc, v6, v9
	v_cndmask_b32_e32 v9, v11, v10, vcc
	v_add_u32_e32 v6, v9, v6
	v_mul_hi_u32 v10, v6, s4
	v_add_u32_e32 v9, -1, v6
	v_lshrrev_b32_e32 v10, 15, v10
	v_cvt_f32_u32_e32 v9, v9
	v_mul_u32_u24_e32 v11, 0xadc8, v10
	v_cvt_f32_u32_e32 v7, v7
	v_sub_u32_e32 v6, v6, v11
	v_mul_u32_u24_e32 v10, 0xd47, v10
	v_mul_lo_u32 v6, v6, s5
	v_xor_b32_e32 v11, 0x7fffffff, v10
	v_sub_u32_e32 v12, 0, v10
	v_cmp_lt_u32_e32 vcc, v6, v10
	v_fma_f32 v9, v9, s8, 0
	v_cndmask_b32_e32 v10, v12, v11, vcc
	v_fma_f32 v7, v7, s8, 0
	v_mul_f32_e32 v9, v9, v9
	v_add_u32_e32 v6, v10, v6
	v_fmac_f32_e32 v9, v7, v7
	v_mul_hi_u32 v10, v6, s4
	v_mul_f32_e32 v11, 0x4f800000, v9
	v_lshrrev_b32_e32 v10, 15, v10
	v_cmp_gt_f32_e32 vcc, s9, v9
	v_cndmask_b32_e32 v9, v9, v11, vcc
	v_mul_u32_u24_e32 v11, 0xadc8, v10
	v_add_u32_e32 v7, -1, v6
	v_sqrt_f32_e32 v12, v9
	v_sub_u32_e32 v6, v6, v11
	v_mul_u32_u24_e32 v10, 0xd47, v10
	v_mul_lo_u32 v6, v6, s5
	v_xor_b32_e32 v11, 0x7fffffff, v10
	v_sub_u32_e32 v13, 0, v10
	v_cmp_lt_u32_e64 s[0:1], v6, v10
	v_cndmask_b32_e64 v10, v13, v11, s[0:1]
	v_add_u32_e32 v6, v10, v6
	v_add_u32_e32 v10, -1, v12
	v_add_u32_e32 v11, 1, v12
	v_add_u32_e32 v13, -1, v6
	v_fma_f32 v14, -v10, v12, v9
	v_fma_f32 v15, -v11, v12, v9
	v_cvt_f32_u32_e32 v13, v13
	v_cmp_ge_f32_e64 s[0:1], 0, v14
	v_cvt_f32_u32_e32 v7, v7
	v_cndmask_b32_e64 v10, v12, v10, s[0:1]
	v_cmp_lt_f32_e64 s[0:1], 0, v15
	v_cndmask_b32_e64 v10, v10, v11, s[0:1]
	v_mul_f32_e32 v11, 0x37800000, v10
	v_cndmask_b32_e32 v10, v10, v11, vcc
	v_fma_f32 v11, v13, s8, 0
	v_cmp_class_f32_e32 vcc, v9, v5
	v_fma_f32 v7, v7, s8, 0
	v_cndmask_b32_e32 v9, v10, v9, vcc
	v_mul_f32_e32 v10, v11, v11
	v_add_f32_e32 v8, 1.0, v4
	v_cmp_nge_f32_e32 vcc, 1.0, v9
	v_fmac_f32_e32 v10, v7, v7
	v_cndmask_b32_e32 v4, v8, v4, vcc
	v_mul_f32_e32 v7, 0x4f800000, v10
	v_cmp_gt_f32_e32 vcc, s9, v10
	v_cndmask_b32_e32 v7, v10, v7, vcc
	v_sqrt_f32_e32 v9, v7
	s_add_i32 s3, s3, -2
	v_add_f32_e32 v8, 1.0, v4
	s_cmp_lg_u32 s3, 0
	v_add_u32_e32 v10, -1, v9
	v_add_u32_e32 v11, 1, v9
	v_fma_f32 v12, -v10, v9, v7
	v_fma_f32 v13, -v11, v9, v7
	v_cmp_ge_f32_e64 s[0:1], 0, v12
	v_cndmask_b32_e64 v9, v9, v10, s[0:1]
	v_cmp_lt_f32_e64 s[0:1], 0, v13
	v_cndmask_b32_e64 v9, v9, v11, s[0:1]
	v_mul_f32_e32 v10, 0x37800000, v9
	v_cndmask_b32_e32 v9, v9, v10, vcc
	v_cmp_class_f32_e32 vcc, v7, v5
	v_cndmask_b32_e32 v7, v9, v7, vcc
	v_cmp_nge_f32_e32 vcc, 1.0, v7
	v_cndmask_b32_e32 v4, v8, v4, vcc
	s_cbranch_scc1 .LBB29_77
; %bb.78:
	v_add_u32_e32 v5, 0x7eed5e96, v3
	v_lshrrev_b32_e32 v6, 19, v5
	v_xor_b32_e32 v5, v5, v6
	v_xor_b32_e32 v5, 0xc761c23c, v5
	v_lshl_add_u32 v5, v5, 5, v5
	v_mov_b32_e32 v7, 0xaccf6200
	v_add_u32_e32 v6, 0xe9f8cc1d, v5
	v_lshl_add_u32 v5, v5, 9, v7
	v_xor_b32_e32 v5, v6, v5
	v_lshlrev_b32_e32 v6, 3, v5
	s_mov_b32 s0, 0xfd7046c5
	v_add3_u32 v5, v5, v6, s0
	v_xor_b32_sdwa v5, v5, v5 dst_sel:DWORD dst_unused:UNUSED_PAD src0_sel:DWORD src1_sel:WORD_1
	v_xor_b32_e32 v5, 0xb55a4f09, v5
	v_mul_hi_u32 v6, v5, 3
	v_sub_u32_e32 v7, v5, v6
	v_lshrrev_b32_e32 v7, 1, v7
	v_add_u32_e32 v6, v7, v6
	v_lshrrev_b32_e32 v6, 30, v6
	s_brev_b32 s0, -2
	v_mul_lo_u32 v6, v6, s0
	v_sub_u32_e32 v5, v5, v6
	v_max_u32_e32 v7, 1, v5
	s_movk_i32 s3, 0x2710
	v_mov_b32_e32 v5, 0
	s_mov_b32 s4, 0xbc8f1391
	s_mov_b32 s5, 0xbc8f
	s_brev_b32 s8, 12
	s_mov_b32 s9, 0xf800000
	v_mov_b32_e32 v6, 0x260
.LBB29_79:                              ; =>This Inner Loop Header: Depth=1
	v_mul_hi_u32 v8, v7, s4
	v_lshrrev_b32_e32 v8, 15, v8
	v_mul_u32_u24_e32 v10, 0xadc8, v8
	v_sub_u32_e32 v7, v7, v10
	v_mul_u32_u24_e32 v8, 0xd47, v8
	v_mul_lo_u32 v7, v7, s5
	v_xor_b32_e32 v10, 0x7fffffff, v8
	v_sub_u32_e32 v11, 0, v8
	v_cmp_lt_u32_e32 vcc, v7, v8
	v_cndmask_b32_e32 v8, v11, v10, vcc
	v_add_u32_e32 v7, v8, v7
	v_mul_hi_u32 v10, v7, s4
	v_lshrrev_b32_e32 v10, 15, v10
	v_mul_u32_u24_e32 v11, 0xadc8, v10
	v_add_u32_e32 v8, -1, v7
	v_sub_u32_e32 v7, v7, v11
	v_mul_u32_u24_e32 v10, 0xd47, v10
	v_mul_lo_u32 v7, v7, s5
	v_xor_b32_e32 v11, 0x7fffffff, v10
	v_sub_u32_e32 v12, 0, v10
	v_cmp_lt_u32_e32 vcc, v7, v10
	v_cndmask_b32_e32 v10, v12, v11, vcc
	v_add_u32_e32 v7, v10, v7
	v_mul_hi_u32 v11, v7, s4
	v_add_u32_e32 v10, -1, v7
	v_lshrrev_b32_e32 v11, 15, v11
	v_cvt_f32_u32_e32 v10, v10
	v_mul_u32_u24_e32 v12, 0xadc8, v11
	v_cvt_f32_u32_e32 v8, v8
	v_sub_u32_e32 v7, v7, v12
	v_mul_u32_u24_e32 v11, 0xd47, v11
	v_mul_lo_u32 v7, v7, s5
	v_xor_b32_e32 v12, 0x7fffffff, v11
	v_sub_u32_e32 v13, 0, v11
	v_cmp_lt_u32_e32 vcc, v7, v11
	v_fma_f32 v10, v10, s8, 0
	v_cndmask_b32_e32 v11, v13, v12, vcc
	v_fma_f32 v8, v8, s8, 0
	v_mul_f32_e32 v10, v10, v10
	v_add_u32_e32 v7, v11, v7
	v_fmac_f32_e32 v10, v8, v8
	v_mul_hi_u32 v11, v7, s4
	v_mul_f32_e32 v12, 0x4f800000, v10
	v_lshrrev_b32_e32 v11, 15, v11
	v_cmp_gt_f32_e32 vcc, s9, v10
	v_cndmask_b32_e32 v10, v10, v12, vcc
	v_mul_u32_u24_e32 v12, 0xadc8, v11
	v_add_u32_e32 v8, -1, v7
	v_sqrt_f32_e32 v13, v10
	v_sub_u32_e32 v7, v7, v12
	v_mul_u32_u24_e32 v11, 0xd47, v11
	v_mul_lo_u32 v7, v7, s5
	v_xor_b32_e32 v12, 0x7fffffff, v11
	v_sub_u32_e32 v14, 0, v11
	v_cmp_lt_u32_e64 s[0:1], v7, v11
	v_cndmask_b32_e64 v11, v14, v12, s[0:1]
	v_add_u32_e32 v7, v11, v7
	v_add_u32_e32 v11, -1, v13
	v_add_u32_e32 v12, 1, v13
	v_add_u32_e32 v14, -1, v7
	v_fma_f32 v15, -v11, v13, v10
	v_fma_f32 v16, -v12, v13, v10
	v_cvt_f32_u32_e32 v14, v14
	v_cmp_ge_f32_e64 s[0:1], 0, v15
	v_cvt_f32_u32_e32 v8, v8
	v_cndmask_b32_e64 v11, v13, v11, s[0:1]
	v_cmp_lt_f32_e64 s[0:1], 0, v16
	v_cndmask_b32_e64 v11, v11, v12, s[0:1]
	v_mul_f32_e32 v12, 0x37800000, v11
	v_cndmask_b32_e32 v11, v11, v12, vcc
	v_fma_f32 v12, v14, s8, 0
	v_cmp_class_f32_e32 vcc, v10, v6
	v_fma_f32 v8, v8, s8, 0
	v_cndmask_b32_e32 v10, v11, v10, vcc
	v_mul_f32_e32 v11, v12, v12
	v_add_f32_e32 v9, 1.0, v5
	v_cmp_nge_f32_e32 vcc, 1.0, v10
	v_fmac_f32_e32 v11, v8, v8
	v_cndmask_b32_e32 v5, v9, v5, vcc
	v_mul_f32_e32 v8, 0x4f800000, v11
	v_cmp_gt_f32_e32 vcc, s9, v11
	v_cndmask_b32_e32 v8, v11, v8, vcc
	v_sqrt_f32_e32 v10, v8
	s_add_i32 s3, s3, -2
	v_add_f32_e32 v9, 1.0, v5
	s_cmp_lg_u32 s3, 0
	v_add_u32_e32 v11, -1, v10
	v_add_u32_e32 v12, 1, v10
	v_fma_f32 v13, -v11, v10, v8
	v_fma_f32 v14, -v12, v10, v8
	v_cmp_ge_f32_e64 s[0:1], 0, v13
	v_cndmask_b32_e64 v10, v10, v11, s[0:1]
	v_cmp_lt_f32_e64 s[0:1], 0, v14
	v_cndmask_b32_e64 v10, v10, v12, s[0:1]
	v_mul_f32_e32 v11, 0x37800000, v10
	v_cndmask_b32_e32 v10, v10, v11, vcc
	v_cmp_class_f32_e32 vcc, v8, v6
	v_cndmask_b32_e32 v8, v10, v8, vcc
	v_cmp_nge_f32_e32 vcc, 1.0, v8
	v_cndmask_b32_e32 v5, v9, v5, vcc
	s_cbranch_scc1 .LBB29_79
; %bb.80:
	v_add_u32_e32 v6, 0x7ef55f16, v3
	v_lshrrev_b32_e32 v7, 19, v6
	v_xor_b32_e32 v6, v6, v7
	v_xor_b32_e32 v6, 0xc761c23c, v6
	v_lshl_add_u32 v6, v6, 5, v6
	v_mov_b32_e32 v8, 0xaccf6200
	v_add_u32_e32 v7, 0xe9f8cc1d, v6
	v_lshl_add_u32 v6, v6, 9, v8
	v_xor_b32_e32 v6, v7, v6
	v_lshlrev_b32_e32 v7, 3, v6
	s_mov_b32 s0, 0xfd7046c5
	v_add3_u32 v6, v6, v7, s0
	v_xor_b32_sdwa v6, v6, v6 dst_sel:DWORD dst_unused:UNUSED_PAD src0_sel:DWORD src1_sel:WORD_1
	v_xor_b32_e32 v6, 0xb55a4f09, v6
	v_mul_hi_u32 v7, v6, 3
	v_sub_u32_e32 v8, v6, v7
	v_lshrrev_b32_e32 v8, 1, v8
	v_add_u32_e32 v7, v8, v7
	v_lshrrev_b32_e32 v7, 30, v7
	s_brev_b32 s0, -2
	v_mul_lo_u32 v7, v7, s0
	v_sub_u32_e32 v6, v6, v7
	v_max_u32_e32 v8, 1, v6
	s_movk_i32 s3, 0x2710
	v_mov_b32_e32 v6, 0
	s_mov_b32 s4, 0xbc8f1391
	s_mov_b32 s5, 0xbc8f
	s_brev_b32 s8, 12
	s_mov_b32 s9, 0xf800000
	v_mov_b32_e32 v7, 0x260
.LBB29_81:                              ; =>This Inner Loop Header: Depth=1
	v_mul_hi_u32 v9, v8, s4
	v_lshrrev_b32_e32 v9, 15, v9
	v_mul_u32_u24_e32 v11, 0xadc8, v9
	v_sub_u32_e32 v8, v8, v11
	v_mul_u32_u24_e32 v9, 0xd47, v9
	v_mul_lo_u32 v8, v8, s5
	v_xor_b32_e32 v11, 0x7fffffff, v9
	v_sub_u32_e32 v12, 0, v9
	v_cmp_lt_u32_e32 vcc, v8, v9
	v_cndmask_b32_e32 v9, v12, v11, vcc
	v_add_u32_e32 v8, v9, v8
	v_mul_hi_u32 v11, v8, s4
	v_lshrrev_b32_e32 v11, 15, v11
	v_mul_u32_u24_e32 v12, 0xadc8, v11
	v_add_u32_e32 v9, -1, v8
	v_sub_u32_e32 v8, v8, v12
	v_mul_u32_u24_e32 v11, 0xd47, v11
	v_mul_lo_u32 v8, v8, s5
	v_xor_b32_e32 v12, 0x7fffffff, v11
	v_sub_u32_e32 v13, 0, v11
	v_cmp_lt_u32_e32 vcc, v8, v11
	v_cndmask_b32_e32 v11, v13, v12, vcc
	v_add_u32_e32 v8, v11, v8
	v_mul_hi_u32 v12, v8, s4
	v_add_u32_e32 v11, -1, v8
	v_lshrrev_b32_e32 v12, 15, v12
	v_cvt_f32_u32_e32 v11, v11
	v_mul_u32_u24_e32 v13, 0xadc8, v12
	v_cvt_f32_u32_e32 v9, v9
	v_sub_u32_e32 v8, v8, v13
	v_mul_u32_u24_e32 v12, 0xd47, v12
	v_mul_lo_u32 v8, v8, s5
	v_xor_b32_e32 v13, 0x7fffffff, v12
	v_sub_u32_e32 v14, 0, v12
	v_cmp_lt_u32_e32 vcc, v8, v12
	v_fma_f32 v11, v11, s8, 0
	v_cndmask_b32_e32 v12, v14, v13, vcc
	v_fma_f32 v9, v9, s8, 0
	v_mul_f32_e32 v11, v11, v11
	v_add_u32_e32 v8, v12, v8
	v_fmac_f32_e32 v11, v9, v9
	v_mul_hi_u32 v12, v8, s4
	v_mul_f32_e32 v13, 0x4f800000, v11
	v_lshrrev_b32_e32 v12, 15, v12
	v_cmp_gt_f32_e32 vcc, s9, v11
	v_cndmask_b32_e32 v11, v11, v13, vcc
	v_mul_u32_u24_e32 v13, 0xadc8, v12
	v_add_u32_e32 v9, -1, v8
	v_sqrt_f32_e32 v14, v11
	v_sub_u32_e32 v8, v8, v13
	v_mul_u32_u24_e32 v12, 0xd47, v12
	v_mul_lo_u32 v8, v8, s5
	v_xor_b32_e32 v13, 0x7fffffff, v12
	v_sub_u32_e32 v15, 0, v12
	v_cmp_lt_u32_e64 s[0:1], v8, v12
	v_cndmask_b32_e64 v12, v15, v13, s[0:1]
	v_add_u32_e32 v8, v12, v8
	v_add_u32_e32 v12, -1, v14
	v_add_u32_e32 v13, 1, v14
	v_add_u32_e32 v15, -1, v8
	v_fma_f32 v16, -v12, v14, v11
	v_fma_f32 v17, -v13, v14, v11
	v_cvt_f32_u32_e32 v15, v15
	v_cmp_ge_f32_e64 s[0:1], 0, v16
	v_cvt_f32_u32_e32 v9, v9
	v_cndmask_b32_e64 v12, v14, v12, s[0:1]
	v_cmp_lt_f32_e64 s[0:1], 0, v17
	v_cndmask_b32_e64 v12, v12, v13, s[0:1]
	v_mul_f32_e32 v13, 0x37800000, v12
	v_cndmask_b32_e32 v12, v12, v13, vcc
	v_fma_f32 v13, v15, s8, 0
	v_cmp_class_f32_e32 vcc, v11, v7
	v_fma_f32 v9, v9, s8, 0
	v_cndmask_b32_e32 v11, v12, v11, vcc
	v_mul_f32_e32 v12, v13, v13
	v_add_f32_e32 v10, 1.0, v6
	v_cmp_nge_f32_e32 vcc, 1.0, v11
	v_fmac_f32_e32 v12, v9, v9
	v_cndmask_b32_e32 v6, v10, v6, vcc
	v_mul_f32_e32 v9, 0x4f800000, v12
	v_cmp_gt_f32_e32 vcc, s9, v12
	v_cndmask_b32_e32 v9, v12, v9, vcc
	v_sqrt_f32_e32 v11, v9
	s_add_i32 s3, s3, -2
	v_add_f32_e32 v10, 1.0, v6
	s_cmp_lg_u32 s3, 0
	v_add_u32_e32 v12, -1, v11
	v_add_u32_e32 v13, 1, v11
	v_fma_f32 v14, -v12, v11, v9
	v_fma_f32 v15, -v13, v11, v9
	v_cmp_ge_f32_e64 s[0:1], 0, v14
	v_cndmask_b32_e64 v11, v11, v12, s[0:1]
	v_cmp_lt_f32_e64 s[0:1], 0, v15
	v_cndmask_b32_e64 v11, v11, v13, s[0:1]
	v_mul_f32_e32 v12, 0x37800000, v11
	v_cndmask_b32_e32 v11, v11, v12, vcc
	v_cmp_class_f32_e32 vcc, v9, v7
	v_cndmask_b32_e32 v9, v11, v9, vcc
	v_cmp_nge_f32_e32 vcc, 1.0, v9
	v_cndmask_b32_e32 v6, v10, v6, vcc
	s_cbranch_scc1 .LBB29_81
; %bb.82:
	v_add_u32_e32 v7, 0x7efd5f96, v3
	v_lshrrev_b32_e32 v8, 19, v7
	v_xor_b32_e32 v7, v7, v8
	v_xor_b32_e32 v7, 0xc761c23c, v7
	v_lshl_add_u32 v7, v7, 5, v7
	v_mov_b32_e32 v9, 0xaccf6200
	v_add_u32_e32 v8, 0xe9f8cc1d, v7
	v_lshl_add_u32 v7, v7, 9, v9
	v_xor_b32_e32 v7, v8, v7
	v_lshlrev_b32_e32 v8, 3, v7
	s_mov_b32 s0, 0xfd7046c5
	v_add3_u32 v7, v7, v8, s0
	v_xor_b32_sdwa v7, v7, v7 dst_sel:DWORD dst_unused:UNUSED_PAD src0_sel:DWORD src1_sel:WORD_1
	v_xor_b32_e32 v7, 0xb55a4f09, v7
	v_mul_hi_u32 v8, v7, 3
	v_sub_u32_e32 v9, v7, v8
	v_lshrrev_b32_e32 v9, 1, v9
	v_add_u32_e32 v8, v9, v8
	v_lshrrev_b32_e32 v8, 30, v8
	s_brev_b32 s0, -2
	v_mul_lo_u32 v8, v8, s0
	v_sub_u32_e32 v7, v7, v8
	v_max_u32_e32 v9, 1, v7
	s_movk_i32 s3, 0x2710
	v_mov_b32_e32 v7, 0
	s_mov_b32 s4, 0xbc8f1391
	s_mov_b32 s5, 0xbc8f
	s_brev_b32 s8, 12
	s_mov_b32 s9, 0xf800000
	v_mov_b32_e32 v8, 0x260
.LBB29_83:                              ; =>This Inner Loop Header: Depth=1
	v_mul_hi_u32 v10, v9, s4
	v_lshrrev_b32_e32 v10, 15, v10
	v_mul_u32_u24_e32 v12, 0xadc8, v10
	v_sub_u32_e32 v9, v9, v12
	v_mul_u32_u24_e32 v10, 0xd47, v10
	v_mul_lo_u32 v9, v9, s5
	v_xor_b32_e32 v12, 0x7fffffff, v10
	v_sub_u32_e32 v13, 0, v10
	v_cmp_lt_u32_e32 vcc, v9, v10
	v_cndmask_b32_e32 v10, v13, v12, vcc
	v_add_u32_e32 v9, v10, v9
	v_mul_hi_u32 v12, v9, s4
	v_lshrrev_b32_e32 v12, 15, v12
	v_mul_u32_u24_e32 v13, 0xadc8, v12
	v_add_u32_e32 v10, -1, v9
	v_sub_u32_e32 v9, v9, v13
	v_mul_u32_u24_e32 v12, 0xd47, v12
	v_mul_lo_u32 v9, v9, s5
	v_xor_b32_e32 v13, 0x7fffffff, v12
	v_sub_u32_e32 v14, 0, v12
	v_cmp_lt_u32_e32 vcc, v9, v12
	v_cndmask_b32_e32 v12, v14, v13, vcc
	v_add_u32_e32 v9, v12, v9
	v_mul_hi_u32 v13, v9, s4
	v_add_u32_e32 v12, -1, v9
	v_lshrrev_b32_e32 v13, 15, v13
	v_cvt_f32_u32_e32 v12, v12
	v_mul_u32_u24_e32 v14, 0xadc8, v13
	v_cvt_f32_u32_e32 v10, v10
	v_sub_u32_e32 v9, v9, v14
	v_mul_u32_u24_e32 v13, 0xd47, v13
	v_mul_lo_u32 v9, v9, s5
	v_xor_b32_e32 v14, 0x7fffffff, v13
	v_sub_u32_e32 v15, 0, v13
	v_cmp_lt_u32_e32 vcc, v9, v13
	v_fma_f32 v12, v12, s8, 0
	v_cndmask_b32_e32 v13, v15, v14, vcc
	v_fma_f32 v10, v10, s8, 0
	v_mul_f32_e32 v12, v12, v12
	v_add_u32_e32 v9, v13, v9
	v_fmac_f32_e32 v12, v10, v10
	v_mul_hi_u32 v13, v9, s4
	v_mul_f32_e32 v14, 0x4f800000, v12
	v_lshrrev_b32_e32 v13, 15, v13
	v_cmp_gt_f32_e32 vcc, s9, v12
	v_cndmask_b32_e32 v12, v12, v14, vcc
	v_mul_u32_u24_e32 v14, 0xadc8, v13
	v_add_u32_e32 v10, -1, v9
	v_sqrt_f32_e32 v15, v12
	v_sub_u32_e32 v9, v9, v14
	v_mul_u32_u24_e32 v13, 0xd47, v13
	v_mul_lo_u32 v9, v9, s5
	v_xor_b32_e32 v14, 0x7fffffff, v13
	v_sub_u32_e32 v16, 0, v13
	v_cmp_lt_u32_e64 s[0:1], v9, v13
	v_cndmask_b32_e64 v13, v16, v14, s[0:1]
	v_add_u32_e32 v9, v13, v9
	v_add_u32_e32 v13, -1, v15
	v_add_u32_e32 v14, 1, v15
	v_add_u32_e32 v16, -1, v9
	v_fma_f32 v17, -v13, v15, v12
	v_fma_f32 v18, -v14, v15, v12
	v_cvt_f32_u32_e32 v16, v16
	v_cmp_ge_f32_e64 s[0:1], 0, v17
	v_cvt_f32_u32_e32 v10, v10
	v_cndmask_b32_e64 v13, v15, v13, s[0:1]
	v_cmp_lt_f32_e64 s[0:1], 0, v18
	v_cndmask_b32_e64 v13, v13, v14, s[0:1]
	v_mul_f32_e32 v14, 0x37800000, v13
	v_cndmask_b32_e32 v13, v13, v14, vcc
	v_fma_f32 v14, v16, s8, 0
	v_cmp_class_f32_e32 vcc, v12, v8
	v_fma_f32 v10, v10, s8, 0
	v_cndmask_b32_e32 v12, v13, v12, vcc
	v_mul_f32_e32 v13, v14, v14
	v_add_f32_e32 v11, 1.0, v7
	v_cmp_nge_f32_e32 vcc, 1.0, v12
	v_fmac_f32_e32 v13, v10, v10
	v_cndmask_b32_e32 v7, v11, v7, vcc
	v_mul_f32_e32 v10, 0x4f800000, v13
	v_cmp_gt_f32_e32 vcc, s9, v13
	v_cndmask_b32_e32 v10, v13, v10, vcc
	v_sqrt_f32_e32 v12, v10
	s_add_i32 s3, s3, -2
	v_add_f32_e32 v11, 1.0, v7
	s_cmp_lg_u32 s3, 0
	v_add_u32_e32 v13, -1, v12
	v_add_u32_e32 v14, 1, v12
	v_fma_f32 v15, -v13, v12, v10
	v_fma_f32 v16, -v14, v12, v10
	v_cmp_ge_f32_e64 s[0:1], 0, v15
	v_cndmask_b32_e64 v12, v12, v13, s[0:1]
	v_cmp_lt_f32_e64 s[0:1], 0, v16
	v_cndmask_b32_e64 v12, v12, v14, s[0:1]
	v_mul_f32_e32 v13, 0x37800000, v12
	v_cndmask_b32_e32 v12, v12, v13, vcc
	v_cmp_class_f32_e32 vcc, v10, v8
	v_cndmask_b32_e32 v10, v12, v10, vcc
	v_cmp_nge_f32_e32 vcc, 1.0, v10
	v_cndmask_b32_e32 v7, v11, v7, vcc
	s_cbranch_scc1 .LBB29_83
; %bb.84:
	v_add_u32_e32 v8, 0x7f056016, v3
	v_lshrrev_b32_e32 v9, 19, v8
	v_xor_b32_e32 v8, v8, v9
	v_xor_b32_e32 v8, 0xc761c23c, v8
	v_lshl_add_u32 v8, v8, 5, v8
	v_mov_b32_e32 v10, 0xaccf6200
	v_add_u32_e32 v9, 0xe9f8cc1d, v8
	v_lshl_add_u32 v8, v8, 9, v10
	v_xor_b32_e32 v8, v9, v8
	v_lshlrev_b32_e32 v9, 3, v8
	s_mov_b32 s0, 0xfd7046c5
	v_add3_u32 v8, v8, v9, s0
	v_xor_b32_sdwa v8, v8, v8 dst_sel:DWORD dst_unused:UNUSED_PAD src0_sel:DWORD src1_sel:WORD_1
	v_xor_b32_e32 v8, 0xb55a4f09, v8
	v_mul_hi_u32 v9, v8, 3
	v_sub_u32_e32 v10, v8, v9
	v_lshrrev_b32_e32 v10, 1, v10
	v_add_u32_e32 v9, v10, v9
	v_lshrrev_b32_e32 v9, 30, v9
	s_brev_b32 s0, -2
	v_mul_lo_u32 v9, v9, s0
	v_sub_u32_e32 v8, v8, v9
	v_max_u32_e32 v10, 1, v8
	s_movk_i32 s3, 0x2710
	v_mov_b32_e32 v8, 0
	s_mov_b32 s4, 0xbc8f1391
	s_mov_b32 s5, 0xbc8f
	s_brev_b32 s8, 12
	s_mov_b32 s9, 0xf800000
	v_mov_b32_e32 v9, 0x260
.LBB29_85:                              ; =>This Inner Loop Header: Depth=1
	v_mul_hi_u32 v11, v10, s4
	v_lshrrev_b32_e32 v11, 15, v11
	v_mul_u32_u24_e32 v13, 0xadc8, v11
	v_sub_u32_e32 v10, v10, v13
	v_mul_u32_u24_e32 v11, 0xd47, v11
	v_mul_lo_u32 v10, v10, s5
	v_xor_b32_e32 v13, 0x7fffffff, v11
	v_sub_u32_e32 v14, 0, v11
	v_cmp_lt_u32_e32 vcc, v10, v11
	v_cndmask_b32_e32 v11, v14, v13, vcc
	v_add_u32_e32 v10, v11, v10
	v_mul_hi_u32 v13, v10, s4
	v_lshrrev_b32_e32 v13, 15, v13
	v_mul_u32_u24_e32 v14, 0xadc8, v13
	v_add_u32_e32 v11, -1, v10
	v_sub_u32_e32 v10, v10, v14
	v_mul_u32_u24_e32 v13, 0xd47, v13
	v_mul_lo_u32 v10, v10, s5
	v_xor_b32_e32 v14, 0x7fffffff, v13
	v_sub_u32_e32 v15, 0, v13
	v_cmp_lt_u32_e32 vcc, v10, v13
	v_cndmask_b32_e32 v13, v15, v14, vcc
	v_add_u32_e32 v10, v13, v10
	v_mul_hi_u32 v14, v10, s4
	v_add_u32_e32 v13, -1, v10
	v_lshrrev_b32_e32 v14, 15, v14
	v_cvt_f32_u32_e32 v13, v13
	v_mul_u32_u24_e32 v15, 0xadc8, v14
	v_cvt_f32_u32_e32 v11, v11
	v_sub_u32_e32 v10, v10, v15
	v_mul_u32_u24_e32 v14, 0xd47, v14
	v_mul_lo_u32 v10, v10, s5
	v_xor_b32_e32 v15, 0x7fffffff, v14
	v_sub_u32_e32 v16, 0, v14
	v_cmp_lt_u32_e32 vcc, v10, v14
	v_fma_f32 v13, v13, s8, 0
	v_cndmask_b32_e32 v14, v16, v15, vcc
	v_fma_f32 v11, v11, s8, 0
	v_mul_f32_e32 v13, v13, v13
	v_add_u32_e32 v10, v14, v10
	v_fmac_f32_e32 v13, v11, v11
	v_mul_hi_u32 v14, v10, s4
	v_mul_f32_e32 v15, 0x4f800000, v13
	v_lshrrev_b32_e32 v14, 15, v14
	v_cmp_gt_f32_e32 vcc, s9, v13
	v_cndmask_b32_e32 v13, v13, v15, vcc
	v_mul_u32_u24_e32 v15, 0xadc8, v14
	v_add_u32_e32 v11, -1, v10
	v_sqrt_f32_e32 v16, v13
	v_sub_u32_e32 v10, v10, v15
	v_mul_u32_u24_e32 v14, 0xd47, v14
	v_mul_lo_u32 v10, v10, s5
	v_xor_b32_e32 v15, 0x7fffffff, v14
	v_sub_u32_e32 v17, 0, v14
	v_cmp_lt_u32_e64 s[0:1], v10, v14
	v_cndmask_b32_e64 v14, v17, v15, s[0:1]
	v_add_u32_e32 v10, v14, v10
	v_add_u32_e32 v14, -1, v16
	v_add_u32_e32 v15, 1, v16
	v_add_u32_e32 v17, -1, v10
	v_fma_f32 v18, -v14, v16, v13
	v_fma_f32 v19, -v15, v16, v13
	v_cvt_f32_u32_e32 v17, v17
	v_cmp_ge_f32_e64 s[0:1], 0, v18
	v_cvt_f32_u32_e32 v11, v11
	v_cndmask_b32_e64 v14, v16, v14, s[0:1]
	v_cmp_lt_f32_e64 s[0:1], 0, v19
	v_cndmask_b32_e64 v14, v14, v15, s[0:1]
	v_mul_f32_e32 v15, 0x37800000, v14
	v_cndmask_b32_e32 v14, v14, v15, vcc
	v_fma_f32 v15, v17, s8, 0
	v_cmp_class_f32_e32 vcc, v13, v9
	v_fma_f32 v11, v11, s8, 0
	v_cndmask_b32_e32 v13, v14, v13, vcc
	v_mul_f32_e32 v14, v15, v15
	v_add_f32_e32 v12, 1.0, v8
	v_cmp_nge_f32_e32 vcc, 1.0, v13
	v_fmac_f32_e32 v14, v11, v11
	v_cndmask_b32_e32 v8, v12, v8, vcc
	v_mul_f32_e32 v11, 0x4f800000, v14
	v_cmp_gt_f32_e32 vcc, s9, v14
	v_cndmask_b32_e32 v11, v14, v11, vcc
	v_sqrt_f32_e32 v13, v11
	s_add_i32 s3, s3, -2
	v_add_f32_e32 v12, 1.0, v8
	s_cmp_lg_u32 s3, 0
	v_add_u32_e32 v14, -1, v13
	v_add_u32_e32 v15, 1, v13
	v_fma_f32 v16, -v14, v13, v11
	v_fma_f32 v17, -v15, v13, v11
	v_cmp_ge_f32_e64 s[0:1], 0, v16
	v_cndmask_b32_e64 v13, v13, v14, s[0:1]
	v_cmp_lt_f32_e64 s[0:1], 0, v17
	v_cndmask_b32_e64 v13, v13, v15, s[0:1]
	v_mul_f32_e32 v14, 0x37800000, v13
	v_cndmask_b32_e32 v13, v13, v14, vcc
	v_cmp_class_f32_e32 vcc, v11, v9
	v_cndmask_b32_e32 v11, v13, v11, vcc
	v_cmp_nge_f32_e32 vcc, 1.0, v11
	v_cndmask_b32_e32 v8, v12, v8, vcc
	s_cbranch_scc1 .LBB29_85
; %bb.86:
	v_add_u32_e32 v3, 0x7f0d6096, v3
	v_lshrrev_b32_e32 v9, 19, v3
	v_xor_b32_e32 v3, v3, v9
	v_xor_b32_e32 v3, 0xc761c23c, v3
	v_lshl_add_u32 v3, v3, 5, v3
	v_mov_b32_e32 v10, 0xaccf6200
	v_add_u32_e32 v9, 0xe9f8cc1d, v3
	v_lshl_add_u32 v3, v3, 9, v10
	v_xor_b32_e32 v3, v9, v3
	v_lshlrev_b32_e32 v9, 3, v3
	s_mov_b32 s0, 0xfd7046c5
	v_add3_u32 v3, v3, v9, s0
	v_xor_b32_sdwa v3, v3, v3 dst_sel:DWORD dst_unused:UNUSED_PAD src0_sel:DWORD src1_sel:WORD_1
	v_xor_b32_e32 v3, 0xb55a4f09, v3
	v_mul_hi_u32 v9, v3, 3
	v_sub_u32_e32 v10, v3, v9
	v_lshrrev_b32_e32 v10, 1, v10
	v_add_u32_e32 v9, v10, v9
	v_lshrrev_b32_e32 v9, 30, v9
	s_brev_b32 s0, -2
	v_mul_lo_u32 v9, v9, s0
	v_sub_u32_e32 v3, v3, v9
	v_max_u32_e32 v10, 1, v3
	s_movk_i32 s3, 0x2710
	v_mov_b32_e32 v3, 0
	s_mov_b32 s4, 0xbc8f1391
	s_mov_b32 s5, 0xbc8f
	s_brev_b32 s8, 12
	s_mov_b32 s9, 0xf800000
	v_mov_b32_e32 v9, 0x260
.LBB29_87:                              ; =>This Inner Loop Header: Depth=1
	v_mul_hi_u32 v11, v10, s4
	v_lshrrev_b32_e32 v11, 15, v11
	v_mul_u32_u24_e32 v13, 0xadc8, v11
	v_sub_u32_e32 v10, v10, v13
	v_mul_u32_u24_e32 v11, 0xd47, v11
	v_mul_lo_u32 v10, v10, s5
	v_xor_b32_e32 v13, 0x7fffffff, v11
	v_sub_u32_e32 v14, 0, v11
	v_cmp_lt_u32_e32 vcc, v10, v11
	v_cndmask_b32_e32 v11, v14, v13, vcc
	v_add_u32_e32 v10, v11, v10
	v_mul_hi_u32 v13, v10, s4
	v_lshrrev_b32_e32 v13, 15, v13
	v_mul_u32_u24_e32 v14, 0xadc8, v13
	v_add_u32_e32 v11, -1, v10
	v_sub_u32_e32 v10, v10, v14
	v_mul_u32_u24_e32 v13, 0xd47, v13
	v_mul_lo_u32 v10, v10, s5
	v_xor_b32_e32 v14, 0x7fffffff, v13
	v_sub_u32_e32 v15, 0, v13
	v_cmp_lt_u32_e32 vcc, v10, v13
	v_cndmask_b32_e32 v13, v15, v14, vcc
	v_add_u32_e32 v10, v13, v10
	v_mul_hi_u32 v14, v10, s4
	v_add_u32_e32 v13, -1, v10
	v_lshrrev_b32_e32 v14, 15, v14
	v_cvt_f32_u32_e32 v13, v13
	v_mul_u32_u24_e32 v15, 0xadc8, v14
	v_cvt_f32_u32_e32 v11, v11
	v_sub_u32_e32 v10, v10, v15
	v_mul_u32_u24_e32 v14, 0xd47, v14
	v_mul_lo_u32 v10, v10, s5
	v_xor_b32_e32 v15, 0x7fffffff, v14
	v_sub_u32_e32 v16, 0, v14
	v_cmp_lt_u32_e32 vcc, v10, v14
	v_fma_f32 v13, v13, s8, 0
	v_cndmask_b32_e32 v14, v16, v15, vcc
	v_fma_f32 v11, v11, s8, 0
	v_mul_f32_e32 v13, v13, v13
	v_add_u32_e32 v10, v14, v10
	v_fmac_f32_e32 v13, v11, v11
	v_mul_hi_u32 v14, v10, s4
	v_mul_f32_e32 v15, 0x4f800000, v13
	v_lshrrev_b32_e32 v14, 15, v14
	v_cmp_gt_f32_e32 vcc, s9, v13
	v_cndmask_b32_e32 v13, v13, v15, vcc
	v_mul_u32_u24_e32 v15, 0xadc8, v14
	v_add_u32_e32 v11, -1, v10
	v_sqrt_f32_e32 v16, v13
	v_sub_u32_e32 v10, v10, v15
	v_mul_u32_u24_e32 v14, 0xd47, v14
	v_mul_lo_u32 v10, v10, s5
	v_xor_b32_e32 v15, 0x7fffffff, v14
	v_sub_u32_e32 v17, 0, v14
	v_cmp_lt_u32_e64 s[0:1], v10, v14
	v_cndmask_b32_e64 v14, v17, v15, s[0:1]
	v_add_u32_e32 v10, v14, v10
	v_add_u32_e32 v14, -1, v16
	v_add_u32_e32 v15, 1, v16
	v_add_u32_e32 v17, -1, v10
	v_fma_f32 v18, -v14, v16, v13
	v_fma_f32 v19, -v15, v16, v13
	v_cvt_f32_u32_e32 v17, v17
	v_cmp_ge_f32_e64 s[0:1], 0, v18
	v_cvt_f32_u32_e32 v11, v11
	v_cndmask_b32_e64 v14, v16, v14, s[0:1]
	v_cmp_lt_f32_e64 s[0:1], 0, v19
	v_cndmask_b32_e64 v14, v14, v15, s[0:1]
	v_mul_f32_e32 v15, 0x37800000, v14
	v_cndmask_b32_e32 v14, v14, v15, vcc
	v_fma_f32 v15, v17, s8, 0
	v_cmp_class_f32_e32 vcc, v13, v9
	v_fma_f32 v11, v11, s8, 0
	v_cndmask_b32_e32 v13, v14, v13, vcc
	v_mul_f32_e32 v14, v15, v15
	v_add_f32_e32 v12, 1.0, v3
	v_cmp_nge_f32_e32 vcc, 1.0, v13
	v_fmac_f32_e32 v14, v11, v11
	v_cndmask_b32_e32 v3, v12, v3, vcc
	v_mul_f32_e32 v11, 0x4f800000, v14
	v_cmp_gt_f32_e32 vcc, s9, v14
	v_cndmask_b32_e32 v11, v14, v11, vcc
	v_sqrt_f32_e32 v13, v11
	s_add_i32 s3, s3, -2
	v_add_f32_e32 v12, 1.0, v3
	s_cmp_lg_u32 s3, 0
	v_add_u32_e32 v14, -1, v13
	v_add_u32_e32 v15, 1, v13
	v_fma_f32 v16, -v14, v13, v11
	v_fma_f32 v17, -v15, v13, v11
	v_cmp_ge_f32_e64 s[0:1], 0, v16
	v_cndmask_b32_e64 v13, v13, v14, s[0:1]
	v_cmp_lt_f32_e64 s[0:1], 0, v17
	v_cndmask_b32_e64 v13, v13, v15, s[0:1]
	v_mul_f32_e32 v14, 0x37800000, v13
	v_cndmask_b32_e32 v13, v13, v14, vcc
	v_cmp_class_f32_e32 vcc, v11, v9
	v_cndmask_b32_e32 v11, v13, v11, vcc
	v_cmp_nge_f32_e32 vcc, 1.0, v11
	v_cndmask_b32_e32 v3, v12, v3, vcc
	s_cbranch_scc1 .LBB29_87
; %bb.88:
	v_mul_f32_e32 v1, 4.0, v1
	s_mov_b32 s3, 0x461c4000
	v_div_scale_f32 v9, s[0:1], s3, s3, v1
	v_rcp_f32_e32 v10, v9
	v_mul_f32_e32 v2, 4.0, v2
	v_mul_f32_e32 v4, 4.0, v4
	;; [unrolled: 1-line block ×3, first 2 shown]
	v_fma_f32 v11, -v9, v10, 1.0
	v_fmac_f32_e32 v10, v11, v10
	v_div_scale_f32 v11, vcc, v1, s3, v1
	v_mul_f32_e32 v12, v11, v10
	v_fma_f32 v13, -v9, v12, v11
	v_fmac_f32_e32 v12, v13, v10
	v_fma_f32 v9, -v9, v12, v11
	v_div_scale_f32 v11, s[0:1], s3, s3, v2
	v_rcp_f32_e32 v13, v11
	v_div_fmas_f32 v9, v9, v10, v12
	v_div_fixup_f32 v1, v9, s3, v1
	v_mul_f32_e32 v6, 4.0, v6
	v_fma_f32 v9, -v11, v13, 1.0
	v_fmac_f32_e32 v13, v9, v13
	v_div_scale_f32 v9, vcc, v2, s3, v2
	v_mul_f32_e32 v10, v9, v13
	v_fma_f32 v12, -v11, v10, v9
	v_fmac_f32_e32 v10, v12, v13
	v_fma_f32 v9, -v11, v10, v9
	v_div_scale_f32 v11, s[0:1], s3, s3, v4
	v_rcp_f32_e32 v12, v11
	v_div_fmas_f32 v9, v9, v13, v10
	v_div_fixup_f32 v2, v9, s3, v2
	v_mul_f32_e32 v7, 4.0, v7
	v_fma_f32 v9, -v11, v12, 1.0
	v_fmac_f32_e32 v12, v9, v12
	v_div_scale_f32 v9, vcc, v4, s3, v4
	v_mul_f32_e32 v10, v9, v12
	v_fma_f32 v13, -v11, v10, v9
	v_fmac_f32_e32 v10, v13, v12
	v_fma_f32 v9, -v11, v10, v9
	v_div_scale_f32 v11, s[0:1], s3, s3, v5
	v_rcp_f32_e32 v13, v11
	v_div_fmas_f32 v9, v9, v12, v10
	v_div_fixup_f32 v4, v9, s3, v4
	v_mul_f32_e32 v8, 4.0, v8
	v_fma_f32 v9, -v11, v13, 1.0
	v_fmac_f32_e32 v13, v9, v13
	v_div_scale_f32 v9, vcc, v5, s3, v5
	v_mul_f32_e32 v10, v9, v13
	v_fma_f32 v12, -v11, v10, v9
	v_fmac_f32_e32 v10, v12, v13
	v_fma_f32 v9, -v11, v10, v9
	v_div_scale_f32 v11, s[0:1], s3, s3, v6
	v_rcp_f32_e32 v12, v11
	v_div_fmas_f32 v9, v9, v13, v10
	v_div_fixup_f32 v5, v9, s3, v5
	v_mul_f32_e32 v3, 4.0, v3
	v_fma_f32 v9, -v11, v12, 1.0
	v_fmac_f32_e32 v12, v9, v12
	v_div_scale_f32 v9, vcc, v6, s3, v6
	v_mul_f32_e32 v10, v9, v12
	v_fma_f32 v13, -v11, v10, v9
	v_fmac_f32_e32 v10, v13, v12
	v_fma_f32 v9, -v11, v10, v9
	v_div_scale_f32 v11, s[0:1], s3, s3, v7
	v_rcp_f32_e32 v13, v11
	v_div_fmas_f32 v9, v9, v12, v10
	v_div_fixup_f32 v6, v9, s3, v6
	v_add_f32_e32 v1, v1, v2
	v_fma_f32 v9, -v11, v13, 1.0
	v_fmac_f32_e32 v13, v9, v13
	v_div_scale_f32 v9, vcc, v7, s3, v7
	v_mul_f32_e32 v10, v9, v13
	v_fma_f32 v12, -v11, v10, v9
	v_fmac_f32_e32 v10, v12, v13
	v_fma_f32 v9, -v11, v10, v9
	v_div_scale_f32 v11, s[0:1], s3, s3, v8
	v_rcp_f32_e32 v12, v11
	v_div_fmas_f32 v9, v9, v13, v10
	v_div_fixup_f32 v7, v9, s3, v7
	v_add_f32_e32 v1, v1, v4
	;; [unrolled: 12-line block ×3, first 2 shown]
	v_fma_f32 v9, -v11, v13, 1.0
	v_fmac_f32_e32 v13, v9, v13
	v_div_scale_f32 v9, vcc, v3, s3, v3
	v_mul_f32_e32 v10, v9, v13
	v_fma_f32 v12, -v11, v10, v9
	v_fmac_f32_e32 v10, v12, v13
	v_fma_f32 v9, -v11, v10, v9
	v_add_f32_e32 v1, v1, v6
	v_div_fmas_f32 v9, v9, v13, v10
	v_add_f32_e32 v1, v1, v7
	v_div_fixup_f32 v3, v9, s3, v3
	v_add_f32_e32 v1, v1, v8
	v_add_f32_e32 v2, v1, v3
	v_mbcnt_lo_u32_b32 v1, -1, 0
	v_mbcnt_hi_u32_b32 v1, -1, v1
	v_add_f32_dpp v2, v2, v2 quad_perm:[1,0,3,2] row_mask:0xf bank_mask:0xf bound_ctrl:1
	v_lshlrev_b32_e32 v3, 2, v1
	v_or_b32_e32 v4, 0xfc, v3
	v_add_f32_dpp v2, v2, v2 quad_perm:[2,3,0,1] row_mask:0xf bank_mask:0xf bound_ctrl:1
	v_cmp_eq_u32_e32 vcc, 0, v1
	s_nop 0
	v_add_f32_dpp v2, v2, v2 row_ror:4 row_mask:0xf bank_mask:0xf bound_ctrl:1
	s_nop 1
	v_add_f32_dpp v2, v2, v2 row_ror:8 row_mask:0xf bank_mask:0xf bound_ctrl:1
	s_nop 1
	v_add_f32_dpp v2, v2, v2 row_bcast:15 row_mask:0xf bank_mask:0xf bound_ctrl:1
	s_nop 1
	v_add_f32_dpp v2, v2, v2 row_bcast:31 row_mask:0xf bank_mask:0xf bound_ctrl:1
	ds_bpermute_b32 v2, v4, v2
	s_and_saveexec_b64 s[0:1], vcc
	s_cbranch_execz .LBB29_90
; %bb.89:
	v_lshrrev_b32_e32 v4, 4, v0
	v_and_b32_e32 v4, 0xffffffc, v4
	s_waitcnt lgkmcnt(0)
	ds_write_b32 v4, v2 offset:40
.LBB29_90:
	s_or_b64 exec, exec, s[0:1]
	v_cmp_gt_u32_e32 vcc, 64, v0
	s_waitcnt lgkmcnt(0)
	s_barrier
	s_and_saveexec_b64 s[0:1], vcc
	s_cbranch_execz .LBB29_92
; %bb.91:
	v_and_b32_e32 v1, 1, v1
	v_lshlrev_b32_e32 v1, 2, v1
	ds_read_b32 v1, v1 offset:40
	v_or_b32_e32 v2, 4, v3
	s_waitcnt lgkmcnt(0)
	ds_bpermute_b32 v2, v2, v1
	s_waitcnt lgkmcnt(0)
	v_add_f32_e32 v2, v1, v2
.LBB29_92:
	s_or_b64 exec, exec, s[0:1]
	s_branch .LBB29_131
.LBB29_93:
                                        ; implicit-def: $vgpr2
	s_cbranch_execz .LBB29_131
; %bb.94:
	s_sub_i32 s25, s68, s2
	v_cmp_gt_u32_e32 vcc, s25, v0
                                        ; implicit-def: $vgpr2_vgpr3_vgpr4_vgpr5_vgpr6_vgpr7_vgpr8_vgpr9
	s_and_saveexec_b64 s[2:3], vcc
	s_cbranch_execz .LBB29_98
; %bb.95:
	v_add_u32_e32 v1, s24, v0
	v_lshlrev_b32_e32 v2, 12, v1
	s_mov_b32 s0, 0x7ed55d16
	v_add3_u32 v1, v1, v2, s0
	v_lshrrev_b32_e32 v2, 19, v1
	v_xor_b32_e32 v1, v1, v2
	v_xor_b32_e32 v1, 0xc761c23c, v1
	v_lshl_add_u32 v1, v1, 5, v1
	v_mov_b32_e32 v3, 0xaccf6200
	v_add_u32_e32 v2, 0xe9f8cc1d, v1
	v_lshl_add_u32 v1, v1, 9, v3
	v_xor_b32_e32 v1, v2, v1
	v_lshlrev_b32_e32 v2, 3, v1
	s_mov_b32 s0, 0xfd7046c5
	v_add3_u32 v1, v1, v2, s0
	v_xor_b32_sdwa v1, v1, v1 dst_sel:DWORD dst_unused:UNUSED_PAD src0_sel:DWORD src1_sel:WORD_1
	v_xor_b32_e32 v1, 0xb55a4f09, v1
	v_mul_hi_u32 v2, v1, 3
	v_sub_u32_e32 v3, v1, v2
	v_lshrrev_b32_e32 v3, 1, v3
	v_add_u32_e32 v2, v3, v2
	v_lshrrev_b32_e32 v2, 30, v2
	s_brev_b32 s0, -2
	v_mul_lo_u32 v2, v2, s0
	v_sub_u32_e32 v1, v1, v2
	v_max_u32_e32 v3, 1, v1
	s_movk_i32 s4, 0x2710
	v_mov_b32_e32 v2, 0
	s_mov_b32 s5, 0xbc8f1391
	s_mov_b32 s8, 0xbc8f
	s_brev_b32 s9, 12
	s_mov_b32 s10, 0xf800000
	v_mov_b32_e32 v1, 0x260
.LBB29_96:                              ; =>This Inner Loop Header: Depth=1
	v_mul_hi_u32 v4, v3, s5
	v_lshrrev_b32_e32 v4, 15, v4
	v_mul_u32_u24_e32 v6, 0xadc8, v4
	v_sub_u32_e32 v3, v3, v6
	v_mul_u32_u24_e32 v4, 0xd47, v4
	v_mul_lo_u32 v3, v3, s8
	v_xor_b32_e32 v6, 0x7fffffff, v4
	v_sub_u32_e32 v7, 0, v4
	v_cmp_lt_u32_e32 vcc, v3, v4
	v_cndmask_b32_e32 v4, v7, v6, vcc
	v_add_u32_e32 v3, v4, v3
	v_mul_hi_u32 v6, v3, s5
	v_lshrrev_b32_e32 v6, 15, v6
	v_mul_u32_u24_e32 v7, 0xadc8, v6
	v_add_u32_e32 v4, -1, v3
	v_sub_u32_e32 v3, v3, v7
	v_mul_u32_u24_e32 v6, 0xd47, v6
	v_mul_lo_u32 v3, v3, s8
	v_xor_b32_e32 v7, 0x7fffffff, v6
	v_sub_u32_e32 v8, 0, v6
	v_cmp_lt_u32_e32 vcc, v3, v6
	v_cndmask_b32_e32 v6, v8, v7, vcc
	v_add_u32_e32 v3, v6, v3
	v_mul_hi_u32 v7, v3, s5
	v_add_u32_e32 v6, -1, v3
	v_lshrrev_b32_e32 v7, 15, v7
	v_cvt_f32_u32_e32 v6, v6
	v_mul_u32_u24_e32 v8, 0xadc8, v7
	v_cvt_f32_u32_e32 v4, v4
	v_sub_u32_e32 v3, v3, v8
	v_mul_u32_u24_e32 v7, 0xd47, v7
	v_mul_lo_u32 v3, v3, s8
	v_xor_b32_e32 v8, 0x7fffffff, v7
	v_sub_u32_e32 v9, 0, v7
	v_cmp_lt_u32_e32 vcc, v3, v7
	v_fma_f32 v6, v6, s9, 0
	v_cndmask_b32_e32 v7, v9, v8, vcc
	v_fma_f32 v4, v4, s9, 0
	v_mul_f32_e32 v6, v6, v6
	v_add_u32_e32 v3, v7, v3
	v_fmac_f32_e32 v6, v4, v4
	v_mul_hi_u32 v7, v3, s5
	v_mul_f32_e32 v8, 0x4f800000, v6
	v_lshrrev_b32_e32 v7, 15, v7
	v_cmp_gt_f32_e32 vcc, s10, v6
	v_cndmask_b32_e32 v6, v6, v8, vcc
	v_mul_u32_u24_e32 v8, 0xadc8, v7
	v_add_u32_e32 v4, -1, v3
	v_sqrt_f32_e32 v9, v6
	v_sub_u32_e32 v3, v3, v8
	v_mul_u32_u24_e32 v7, 0xd47, v7
	v_mul_lo_u32 v3, v3, s8
	v_xor_b32_e32 v8, 0x7fffffff, v7
	v_sub_u32_e32 v10, 0, v7
	v_cmp_lt_u32_e64 s[0:1], v3, v7
	v_cndmask_b32_e64 v7, v10, v8, s[0:1]
	v_add_u32_e32 v3, v7, v3
	v_add_u32_e32 v7, -1, v9
	v_add_u32_e32 v8, 1, v9
	v_add_u32_e32 v10, -1, v3
	v_fma_f32 v11, -v7, v9, v6
	v_fma_f32 v12, -v8, v9, v6
	v_cvt_f32_u32_e32 v10, v10
	v_cmp_ge_f32_e64 s[0:1], 0, v11
	v_cvt_f32_u32_e32 v4, v4
	v_cndmask_b32_e64 v7, v9, v7, s[0:1]
	v_cmp_lt_f32_e64 s[0:1], 0, v12
	v_cndmask_b32_e64 v7, v7, v8, s[0:1]
	v_mul_f32_e32 v8, 0x37800000, v7
	v_cndmask_b32_e32 v7, v7, v8, vcc
	v_fma_f32 v8, v10, s9, 0
	v_cmp_class_f32_e32 vcc, v6, v1
	v_fma_f32 v4, v4, s9, 0
	v_cndmask_b32_e32 v6, v7, v6, vcc
	v_mul_f32_e32 v7, v8, v8
	v_add_f32_e32 v5, 1.0, v2
	v_cmp_nge_f32_e32 vcc, 1.0, v6
	v_fmac_f32_e32 v7, v4, v4
	v_cndmask_b32_e32 v2, v5, v2, vcc
	v_mul_f32_e32 v4, 0x4f800000, v7
	v_cmp_gt_f32_e32 vcc, s10, v7
	v_cndmask_b32_e32 v4, v7, v4, vcc
	v_sqrt_f32_e32 v6, v4
	s_add_i32 s4, s4, -2
	v_add_f32_e32 v5, 1.0, v2
	s_cmp_lg_u32 s4, 0
	v_add_u32_e32 v7, -1, v6
	v_add_u32_e32 v8, 1, v6
	v_fma_f32 v9, -v7, v6, v4
	v_fma_f32 v10, -v8, v6, v4
	v_cmp_ge_f32_e64 s[0:1], 0, v9
	v_cndmask_b32_e64 v6, v6, v7, s[0:1]
	v_cmp_lt_f32_e64 s[0:1], 0, v10
	v_cndmask_b32_e64 v6, v6, v8, s[0:1]
	v_mul_f32_e32 v7, 0x37800000, v6
	v_cndmask_b32_e32 v6, v6, v7, vcc
	v_cmp_class_f32_e32 vcc, v4, v1
	v_cndmask_b32_e32 v4, v6, v4, vcc
	v_cmp_nge_f32_e32 vcc, 1.0, v4
	v_cndmask_b32_e32 v2, v5, v2, vcc
	s_cbranch_scc1 .LBB29_96
; %bb.97:
	v_mul_f32_e32 v1, 4.0, v2
	s_mov_b32 s4, 0x461c4000
	v_div_scale_f32 v2, s[0:1], s4, s4, v1
	v_rcp_f32_e32 v3, v2
	v_fma_f32 v4, -v2, v3, 1.0
	v_fmac_f32_e32 v3, v4, v3
	v_div_scale_f32 v4, vcc, v1, s4, v1
	v_mul_f32_e32 v5, v4, v3
	v_fma_f32 v6, -v2, v5, v4
	v_fmac_f32_e32 v5, v6, v3
	v_fma_f32 v2, -v2, v5, v4
	v_div_fmas_f32 v2, v2, v3, v5
	v_div_fixup_f32 v2, v2, s4, v1
.LBB29_98:
	s_or_b64 exec, exec, s[2:3]
	v_add_u32_e32 v1, 0x80, v0
	v_cmp_gt_u32_e64 s[0:1], s25, v1
	s_and_saveexec_b64 s[4:5], s[0:1]
	s_cbranch_execz .LBB29_102
; %bb.99:
	v_add_u32_e32 v1, s24, v1
	v_lshlrev_b32_e32 v3, 12, v1
	s_mov_b32 s2, 0x7ed55d16
	v_add3_u32 v1, v1, v3, s2
	v_lshrrev_b32_e32 v3, 19, v1
	v_xor_b32_e32 v1, v1, v3
	v_xor_b32_e32 v1, 0xc761c23c, v1
	v_lshl_add_u32 v1, v1, 5, v1
	v_mov_b32_e32 v10, 0xaccf6200
	v_add_u32_e32 v3, 0xe9f8cc1d, v1
	v_lshl_add_u32 v1, v1, 9, v10
	v_xor_b32_e32 v1, v3, v1
	v_lshlrev_b32_e32 v3, 3, v1
	s_mov_b32 s2, 0xfd7046c5
	v_add3_u32 v1, v1, v3, s2
	v_xor_b32_sdwa v1, v1, v1 dst_sel:DWORD dst_unused:UNUSED_PAD src0_sel:DWORD src1_sel:WORD_1
	v_xor_b32_e32 v1, 0xb55a4f09, v1
	v_mul_hi_u32 v3, v1, 3
	v_sub_u32_e32 v10, v1, v3
	v_lshrrev_b32_e32 v10, 1, v10
	v_add_u32_e32 v3, v10, v3
	v_lshrrev_b32_e32 v3, 30, v3
	s_brev_b32 s2, -2
	v_mul_lo_u32 v3, v3, s2
	v_sub_u32_e32 v1, v1, v3
	v_max_u32_e32 v10, 1, v1
	s_movk_i32 s8, 0x2710
	v_mov_b32_e32 v3, 0
	s_mov_b32 s9, 0xbc8f1391
	s_mov_b32 s10, 0xbc8f
	s_brev_b32 s11, 12
	s_mov_b32 s12, 0xf800000
	v_mov_b32_e32 v1, 0x260
.LBB29_100:                             ; =>This Inner Loop Header: Depth=1
	v_mul_hi_u32 v11, v10, s9
	v_lshrrev_b32_e32 v11, 15, v11
	v_mul_u32_u24_e32 v13, 0xadc8, v11
	v_sub_u32_e32 v10, v10, v13
	v_mul_u32_u24_e32 v11, 0xd47, v11
	v_mul_lo_u32 v10, v10, s10
	v_xor_b32_e32 v13, 0x7fffffff, v11
	v_sub_u32_e32 v14, 0, v11
	v_cmp_lt_u32_e32 vcc, v10, v11
	v_cndmask_b32_e32 v11, v14, v13, vcc
	v_add_u32_e32 v10, v11, v10
	v_mul_hi_u32 v13, v10, s9
	v_lshrrev_b32_e32 v13, 15, v13
	v_mul_u32_u24_e32 v14, 0xadc8, v13
	v_add_u32_e32 v11, -1, v10
	v_sub_u32_e32 v10, v10, v14
	v_mul_u32_u24_e32 v13, 0xd47, v13
	v_mul_lo_u32 v10, v10, s10
	v_xor_b32_e32 v14, 0x7fffffff, v13
	v_sub_u32_e32 v15, 0, v13
	v_cmp_lt_u32_e32 vcc, v10, v13
	v_cndmask_b32_e32 v13, v15, v14, vcc
	v_add_u32_e32 v10, v13, v10
	v_mul_hi_u32 v14, v10, s9
	v_add_u32_e32 v13, -1, v10
	v_lshrrev_b32_e32 v14, 15, v14
	v_cvt_f32_u32_e32 v13, v13
	v_mul_u32_u24_e32 v15, 0xadc8, v14
	v_cvt_f32_u32_e32 v11, v11
	v_sub_u32_e32 v10, v10, v15
	v_mul_u32_u24_e32 v14, 0xd47, v14
	v_mul_lo_u32 v10, v10, s10
	v_xor_b32_e32 v15, 0x7fffffff, v14
	v_sub_u32_e32 v16, 0, v14
	v_cmp_lt_u32_e32 vcc, v10, v14
	v_fma_f32 v13, v13, s11, 0
	v_cndmask_b32_e32 v14, v16, v15, vcc
	v_fma_f32 v11, v11, s11, 0
	v_mul_f32_e32 v13, v13, v13
	v_add_u32_e32 v10, v14, v10
	v_fmac_f32_e32 v13, v11, v11
	v_mul_hi_u32 v14, v10, s9
	v_mul_f32_e32 v15, 0x4f800000, v13
	v_lshrrev_b32_e32 v14, 15, v14
	v_cmp_gt_f32_e32 vcc, s12, v13
	v_cndmask_b32_e32 v13, v13, v15, vcc
	v_mul_u32_u24_e32 v15, 0xadc8, v14
	v_add_u32_e32 v11, -1, v10
	v_sqrt_f32_e32 v16, v13
	v_sub_u32_e32 v10, v10, v15
	v_mul_u32_u24_e32 v14, 0xd47, v14
	v_mul_lo_u32 v10, v10, s10
	v_xor_b32_e32 v15, 0x7fffffff, v14
	v_sub_u32_e32 v17, 0, v14
	v_cmp_lt_u32_e64 s[2:3], v10, v14
	v_cndmask_b32_e64 v14, v17, v15, s[2:3]
	v_add_u32_e32 v10, v14, v10
	v_add_u32_e32 v14, -1, v16
	v_add_u32_e32 v15, 1, v16
	v_add_u32_e32 v17, -1, v10
	v_fma_f32 v18, -v14, v16, v13
	v_fma_f32 v19, -v15, v16, v13
	v_cvt_f32_u32_e32 v17, v17
	v_cmp_ge_f32_e64 s[2:3], 0, v18
	v_cvt_f32_u32_e32 v11, v11
	v_cndmask_b32_e64 v14, v16, v14, s[2:3]
	v_cmp_lt_f32_e64 s[2:3], 0, v19
	v_cndmask_b32_e64 v14, v14, v15, s[2:3]
	v_mul_f32_e32 v15, 0x37800000, v14
	v_cndmask_b32_e32 v14, v14, v15, vcc
	v_fma_f32 v15, v17, s11, 0
	v_cmp_class_f32_e32 vcc, v13, v1
	v_fma_f32 v11, v11, s11, 0
	v_cndmask_b32_e32 v13, v14, v13, vcc
	v_mul_f32_e32 v14, v15, v15
	v_add_f32_e32 v12, 1.0, v3
	v_cmp_nge_f32_e32 vcc, 1.0, v13
	v_fmac_f32_e32 v14, v11, v11
	v_cndmask_b32_e32 v3, v12, v3, vcc
	v_mul_f32_e32 v11, 0x4f800000, v14
	v_cmp_gt_f32_e32 vcc, s12, v14
	v_cndmask_b32_e32 v11, v14, v11, vcc
	v_sqrt_f32_e32 v13, v11
	s_add_i32 s8, s8, -2
	v_add_f32_e32 v12, 1.0, v3
	s_cmp_lg_u32 s8, 0
	v_add_u32_e32 v14, -1, v13
	v_add_u32_e32 v15, 1, v13
	v_fma_f32 v16, -v14, v13, v11
	v_fma_f32 v17, -v15, v13, v11
	v_cmp_ge_f32_e64 s[2:3], 0, v16
	v_cndmask_b32_e64 v13, v13, v14, s[2:3]
	v_cmp_lt_f32_e64 s[2:3], 0, v17
	v_cndmask_b32_e64 v13, v13, v15, s[2:3]
	v_mul_f32_e32 v14, 0x37800000, v13
	v_cndmask_b32_e32 v13, v13, v14, vcc
	v_cmp_class_f32_e32 vcc, v11, v1
	v_cndmask_b32_e32 v11, v13, v11, vcc
	v_cmp_nge_f32_e32 vcc, 1.0, v11
	v_cndmask_b32_e32 v3, v12, v3, vcc
	s_cbranch_scc1 .LBB29_100
; %bb.101:
	v_mul_f32_e32 v1, 4.0, v3
	s_mov_b32 s8, 0x461c4000
	v_div_scale_f32 v3, s[2:3], s8, s8, v1
	v_rcp_f32_e32 v10, v3
	v_fma_f32 v11, -v3, v10, 1.0
	v_fmac_f32_e32 v10, v11, v10
	v_div_scale_f32 v11, vcc, v1, s8, v1
	v_mul_f32_e32 v12, v11, v10
	v_fma_f32 v13, -v3, v12, v11
	v_fmac_f32_e32 v12, v13, v10
	v_fma_f32 v3, -v3, v12, v11
	v_div_fmas_f32 v3, v3, v10, v12
	v_div_fixup_f32 v3, v3, s8, v1
.LBB29_102:
	s_or_b64 exec, exec, s[4:5]
	v_add_u32_e32 v1, 0x100, v0
	v_cmp_gt_u32_e64 s[2:3], s25, v1
	s_and_saveexec_b64 s[8:9], s[2:3]
	s_cbranch_execz .LBB29_106
; %bb.103:
	v_add_u32_e32 v1, s24, v1
	v_lshlrev_b32_e32 v4, 12, v1
	s_mov_b32 s4, 0x7ed55d16
	v_add3_u32 v1, v1, v4, s4
	v_lshrrev_b32_e32 v4, 19, v1
	v_xor_b32_e32 v1, v1, v4
	v_xor_b32_e32 v1, 0xc761c23c, v1
	v_lshl_add_u32 v1, v1, 5, v1
	v_mov_b32_e32 v10, 0xaccf6200
	v_add_u32_e32 v4, 0xe9f8cc1d, v1
	v_lshl_add_u32 v1, v1, 9, v10
	v_xor_b32_e32 v1, v4, v1
	v_lshlrev_b32_e32 v4, 3, v1
	s_mov_b32 s4, 0xfd7046c5
	v_add3_u32 v1, v1, v4, s4
	v_xor_b32_sdwa v1, v1, v1 dst_sel:DWORD dst_unused:UNUSED_PAD src0_sel:DWORD src1_sel:WORD_1
	v_xor_b32_e32 v1, 0xb55a4f09, v1
	v_mul_hi_u32 v4, v1, 3
	v_sub_u32_e32 v10, v1, v4
	v_lshrrev_b32_e32 v10, 1, v10
	v_add_u32_e32 v4, v10, v4
	v_lshrrev_b32_e32 v4, 30, v4
	s_brev_b32 s4, -2
	v_mul_lo_u32 v4, v4, s4
	v_sub_u32_e32 v1, v1, v4
	v_max_u32_e32 v10, 1, v1
	s_movk_i32 s10, 0x2710
	v_mov_b32_e32 v4, 0
	s_mov_b32 s11, 0xbc8f1391
	s_mov_b32 s12, 0xbc8f
	s_brev_b32 s13, 12
	s_mov_b32 s14, 0xf800000
	v_mov_b32_e32 v1, 0x260
.LBB29_104:                             ; =>This Inner Loop Header: Depth=1
	v_mul_hi_u32 v11, v10, s11
	v_lshrrev_b32_e32 v11, 15, v11
	v_mul_u32_u24_e32 v13, 0xadc8, v11
	v_sub_u32_e32 v10, v10, v13
	v_mul_u32_u24_e32 v11, 0xd47, v11
	v_mul_lo_u32 v10, v10, s12
	v_xor_b32_e32 v13, 0x7fffffff, v11
	v_sub_u32_e32 v14, 0, v11
	v_cmp_lt_u32_e32 vcc, v10, v11
	v_cndmask_b32_e32 v11, v14, v13, vcc
	v_add_u32_e32 v10, v11, v10
	v_mul_hi_u32 v13, v10, s11
	v_lshrrev_b32_e32 v13, 15, v13
	v_mul_u32_u24_e32 v14, 0xadc8, v13
	v_add_u32_e32 v11, -1, v10
	v_sub_u32_e32 v10, v10, v14
	v_mul_u32_u24_e32 v13, 0xd47, v13
	v_mul_lo_u32 v10, v10, s12
	v_xor_b32_e32 v14, 0x7fffffff, v13
	v_sub_u32_e32 v15, 0, v13
	v_cmp_lt_u32_e32 vcc, v10, v13
	v_cndmask_b32_e32 v13, v15, v14, vcc
	v_add_u32_e32 v10, v13, v10
	v_mul_hi_u32 v14, v10, s11
	v_add_u32_e32 v13, -1, v10
	v_lshrrev_b32_e32 v14, 15, v14
	v_cvt_f32_u32_e32 v13, v13
	v_mul_u32_u24_e32 v15, 0xadc8, v14
	v_cvt_f32_u32_e32 v11, v11
	v_sub_u32_e32 v10, v10, v15
	v_mul_u32_u24_e32 v14, 0xd47, v14
	v_mul_lo_u32 v10, v10, s12
	v_xor_b32_e32 v15, 0x7fffffff, v14
	v_sub_u32_e32 v16, 0, v14
	v_cmp_lt_u32_e32 vcc, v10, v14
	v_fma_f32 v13, v13, s13, 0
	v_cndmask_b32_e32 v14, v16, v15, vcc
	v_fma_f32 v11, v11, s13, 0
	v_mul_f32_e32 v13, v13, v13
	v_add_u32_e32 v10, v14, v10
	v_fmac_f32_e32 v13, v11, v11
	v_mul_hi_u32 v14, v10, s11
	v_mul_f32_e32 v15, 0x4f800000, v13
	v_lshrrev_b32_e32 v14, 15, v14
	v_cmp_gt_f32_e32 vcc, s14, v13
	v_cndmask_b32_e32 v13, v13, v15, vcc
	v_mul_u32_u24_e32 v15, 0xadc8, v14
	v_add_u32_e32 v11, -1, v10
	v_sqrt_f32_e32 v16, v13
	v_sub_u32_e32 v10, v10, v15
	v_mul_u32_u24_e32 v14, 0xd47, v14
	v_mul_lo_u32 v10, v10, s12
	v_xor_b32_e32 v15, 0x7fffffff, v14
	v_sub_u32_e32 v17, 0, v14
	v_cmp_lt_u32_e64 s[4:5], v10, v14
	v_cndmask_b32_e64 v14, v17, v15, s[4:5]
	v_add_u32_e32 v10, v14, v10
	v_add_u32_e32 v14, -1, v16
	v_add_u32_e32 v15, 1, v16
	v_add_u32_e32 v17, -1, v10
	v_fma_f32 v18, -v14, v16, v13
	v_fma_f32 v19, -v15, v16, v13
	v_cvt_f32_u32_e32 v17, v17
	v_cmp_ge_f32_e64 s[4:5], 0, v18
	v_cvt_f32_u32_e32 v11, v11
	v_cndmask_b32_e64 v14, v16, v14, s[4:5]
	v_cmp_lt_f32_e64 s[4:5], 0, v19
	v_cndmask_b32_e64 v14, v14, v15, s[4:5]
	v_mul_f32_e32 v15, 0x37800000, v14
	v_cndmask_b32_e32 v14, v14, v15, vcc
	v_fma_f32 v15, v17, s13, 0
	v_cmp_class_f32_e32 vcc, v13, v1
	v_fma_f32 v11, v11, s13, 0
	v_cndmask_b32_e32 v13, v14, v13, vcc
	v_mul_f32_e32 v14, v15, v15
	v_add_f32_e32 v12, 1.0, v4
	v_cmp_nge_f32_e32 vcc, 1.0, v13
	v_fmac_f32_e32 v14, v11, v11
	v_cndmask_b32_e32 v4, v12, v4, vcc
	v_mul_f32_e32 v11, 0x4f800000, v14
	v_cmp_gt_f32_e32 vcc, s14, v14
	v_cndmask_b32_e32 v11, v14, v11, vcc
	v_sqrt_f32_e32 v13, v11
	s_add_i32 s10, s10, -2
	v_add_f32_e32 v12, 1.0, v4
	s_cmp_lg_u32 s10, 0
	v_add_u32_e32 v14, -1, v13
	v_add_u32_e32 v15, 1, v13
	v_fma_f32 v16, -v14, v13, v11
	v_fma_f32 v17, -v15, v13, v11
	v_cmp_ge_f32_e64 s[4:5], 0, v16
	v_cndmask_b32_e64 v13, v13, v14, s[4:5]
	v_cmp_lt_f32_e64 s[4:5], 0, v17
	v_cndmask_b32_e64 v13, v13, v15, s[4:5]
	v_mul_f32_e32 v14, 0x37800000, v13
	v_cndmask_b32_e32 v13, v13, v14, vcc
	v_cmp_class_f32_e32 vcc, v11, v1
	v_cndmask_b32_e32 v11, v13, v11, vcc
	v_cmp_nge_f32_e32 vcc, 1.0, v11
	v_cndmask_b32_e32 v4, v12, v4, vcc
	s_cbranch_scc1 .LBB29_104
; %bb.105:
	v_mul_f32_e32 v1, 4.0, v4
	s_mov_b32 s10, 0x461c4000
	v_div_scale_f32 v4, s[4:5], s10, s10, v1
	v_rcp_f32_e32 v10, v4
	v_fma_f32 v11, -v4, v10, 1.0
	v_fmac_f32_e32 v10, v11, v10
	v_div_scale_f32 v11, vcc, v1, s10, v1
	v_mul_f32_e32 v12, v11, v10
	v_fma_f32 v13, -v4, v12, v11
	v_fmac_f32_e32 v12, v13, v10
	v_fma_f32 v4, -v4, v12, v11
	v_div_fmas_f32 v4, v4, v10, v12
	v_div_fixup_f32 v4, v4, s10, v1
.LBB29_106:
	s_or_b64 exec, exec, s[8:9]
	v_add_u32_e32 v1, 0x180, v0
	v_cmp_gt_u32_e64 s[4:5], s25, v1
	s_and_saveexec_b64 s[10:11], s[4:5]
	s_cbranch_execz .LBB29_110
; %bb.107:
	v_add_u32_e32 v1, s24, v1
	v_lshlrev_b32_e32 v5, 12, v1
	s_mov_b32 s8, 0x7ed55d16
	v_add3_u32 v1, v1, v5, s8
	v_lshrrev_b32_e32 v5, 19, v1
	v_xor_b32_e32 v1, v1, v5
	v_xor_b32_e32 v1, 0xc761c23c, v1
	v_lshl_add_u32 v1, v1, 5, v1
	v_mov_b32_e32 v10, 0xaccf6200
	v_add_u32_e32 v5, 0xe9f8cc1d, v1
	v_lshl_add_u32 v1, v1, 9, v10
	v_xor_b32_e32 v1, v5, v1
	v_lshlrev_b32_e32 v5, 3, v1
	s_mov_b32 s8, 0xfd7046c5
	v_add3_u32 v1, v1, v5, s8
	v_xor_b32_sdwa v1, v1, v1 dst_sel:DWORD dst_unused:UNUSED_PAD src0_sel:DWORD src1_sel:WORD_1
	v_xor_b32_e32 v1, 0xb55a4f09, v1
	v_mul_hi_u32 v5, v1, 3
	v_sub_u32_e32 v10, v1, v5
	v_lshrrev_b32_e32 v10, 1, v10
	v_add_u32_e32 v5, v10, v5
	v_lshrrev_b32_e32 v5, 30, v5
	s_brev_b32 s8, -2
	v_mul_lo_u32 v5, v5, s8
	v_sub_u32_e32 v1, v1, v5
	v_max_u32_e32 v10, 1, v1
	s_movk_i32 s12, 0x2710
	v_mov_b32_e32 v5, 0
	s_mov_b32 s13, 0xbc8f1391
	s_mov_b32 s14, 0xbc8f
	s_brev_b32 s15, 12
	s_mov_b32 s16, 0xf800000
	v_mov_b32_e32 v1, 0x260
.LBB29_108:                             ; =>This Inner Loop Header: Depth=1
	v_mul_hi_u32 v11, v10, s13
	v_lshrrev_b32_e32 v11, 15, v11
	v_mul_u32_u24_e32 v13, 0xadc8, v11
	v_sub_u32_e32 v10, v10, v13
	v_mul_u32_u24_e32 v11, 0xd47, v11
	v_mul_lo_u32 v10, v10, s14
	v_xor_b32_e32 v13, 0x7fffffff, v11
	v_sub_u32_e32 v14, 0, v11
	v_cmp_lt_u32_e32 vcc, v10, v11
	v_cndmask_b32_e32 v11, v14, v13, vcc
	v_add_u32_e32 v10, v11, v10
	v_mul_hi_u32 v13, v10, s13
	v_lshrrev_b32_e32 v13, 15, v13
	v_mul_u32_u24_e32 v14, 0xadc8, v13
	v_add_u32_e32 v11, -1, v10
	v_sub_u32_e32 v10, v10, v14
	v_mul_u32_u24_e32 v13, 0xd47, v13
	v_mul_lo_u32 v10, v10, s14
	v_xor_b32_e32 v14, 0x7fffffff, v13
	v_sub_u32_e32 v15, 0, v13
	v_cmp_lt_u32_e32 vcc, v10, v13
	v_cndmask_b32_e32 v13, v15, v14, vcc
	v_add_u32_e32 v10, v13, v10
	v_mul_hi_u32 v14, v10, s13
	v_add_u32_e32 v13, -1, v10
	v_lshrrev_b32_e32 v14, 15, v14
	v_cvt_f32_u32_e32 v13, v13
	v_mul_u32_u24_e32 v15, 0xadc8, v14
	v_cvt_f32_u32_e32 v11, v11
	v_sub_u32_e32 v10, v10, v15
	v_mul_u32_u24_e32 v14, 0xd47, v14
	v_mul_lo_u32 v10, v10, s14
	v_xor_b32_e32 v15, 0x7fffffff, v14
	v_sub_u32_e32 v16, 0, v14
	v_cmp_lt_u32_e32 vcc, v10, v14
	v_fma_f32 v13, v13, s15, 0
	v_cndmask_b32_e32 v14, v16, v15, vcc
	v_fma_f32 v11, v11, s15, 0
	v_mul_f32_e32 v13, v13, v13
	v_add_u32_e32 v10, v14, v10
	v_fmac_f32_e32 v13, v11, v11
	v_mul_hi_u32 v14, v10, s13
	v_mul_f32_e32 v15, 0x4f800000, v13
	v_lshrrev_b32_e32 v14, 15, v14
	v_cmp_gt_f32_e32 vcc, s16, v13
	v_cndmask_b32_e32 v13, v13, v15, vcc
	v_mul_u32_u24_e32 v15, 0xadc8, v14
	v_add_u32_e32 v11, -1, v10
	v_sqrt_f32_e32 v16, v13
	v_sub_u32_e32 v10, v10, v15
	v_mul_u32_u24_e32 v14, 0xd47, v14
	v_mul_lo_u32 v10, v10, s14
	v_xor_b32_e32 v15, 0x7fffffff, v14
	v_sub_u32_e32 v17, 0, v14
	v_cmp_lt_u32_e64 s[8:9], v10, v14
	v_cndmask_b32_e64 v14, v17, v15, s[8:9]
	v_add_u32_e32 v10, v14, v10
	v_add_u32_e32 v14, -1, v16
	v_add_u32_e32 v15, 1, v16
	v_add_u32_e32 v17, -1, v10
	v_fma_f32 v18, -v14, v16, v13
	v_fma_f32 v19, -v15, v16, v13
	v_cvt_f32_u32_e32 v17, v17
	v_cmp_ge_f32_e64 s[8:9], 0, v18
	v_cvt_f32_u32_e32 v11, v11
	v_cndmask_b32_e64 v14, v16, v14, s[8:9]
	v_cmp_lt_f32_e64 s[8:9], 0, v19
	v_cndmask_b32_e64 v14, v14, v15, s[8:9]
	v_mul_f32_e32 v15, 0x37800000, v14
	v_cndmask_b32_e32 v14, v14, v15, vcc
	v_fma_f32 v15, v17, s15, 0
	v_cmp_class_f32_e32 vcc, v13, v1
	v_fma_f32 v11, v11, s15, 0
	v_cndmask_b32_e32 v13, v14, v13, vcc
	v_mul_f32_e32 v14, v15, v15
	v_add_f32_e32 v12, 1.0, v5
	v_cmp_nge_f32_e32 vcc, 1.0, v13
	v_fmac_f32_e32 v14, v11, v11
	v_cndmask_b32_e32 v5, v12, v5, vcc
	v_mul_f32_e32 v11, 0x4f800000, v14
	v_cmp_gt_f32_e32 vcc, s16, v14
	v_cndmask_b32_e32 v11, v14, v11, vcc
	v_sqrt_f32_e32 v13, v11
	s_add_i32 s12, s12, -2
	v_add_f32_e32 v12, 1.0, v5
	s_cmp_lg_u32 s12, 0
	v_add_u32_e32 v14, -1, v13
	v_add_u32_e32 v15, 1, v13
	v_fma_f32 v16, -v14, v13, v11
	v_fma_f32 v17, -v15, v13, v11
	v_cmp_ge_f32_e64 s[8:9], 0, v16
	v_cndmask_b32_e64 v13, v13, v14, s[8:9]
	v_cmp_lt_f32_e64 s[8:9], 0, v17
	v_cndmask_b32_e64 v13, v13, v15, s[8:9]
	v_mul_f32_e32 v14, 0x37800000, v13
	v_cndmask_b32_e32 v13, v13, v14, vcc
	v_cmp_class_f32_e32 vcc, v11, v1
	v_cndmask_b32_e32 v11, v13, v11, vcc
	v_cmp_nge_f32_e32 vcc, 1.0, v11
	v_cndmask_b32_e32 v5, v12, v5, vcc
	s_cbranch_scc1 .LBB29_108
; %bb.109:
	v_mul_f32_e32 v1, 4.0, v5
	s_mov_b32 s12, 0x461c4000
	v_div_scale_f32 v5, s[8:9], s12, s12, v1
	v_rcp_f32_e32 v10, v5
	v_fma_f32 v11, -v5, v10, 1.0
	v_fmac_f32_e32 v10, v11, v10
	v_div_scale_f32 v11, vcc, v1, s12, v1
	v_mul_f32_e32 v12, v11, v10
	v_fma_f32 v13, -v5, v12, v11
	v_fmac_f32_e32 v12, v13, v10
	v_fma_f32 v5, -v5, v12, v11
	v_div_fmas_f32 v5, v5, v10, v12
	v_div_fixup_f32 v5, v5, s12, v1
.LBB29_110:
	s_or_b64 exec, exec, s[10:11]
	v_add_u32_e32 v1, 0x200, v0
	v_cmp_gt_u32_e64 s[8:9], s25, v1
	s_and_saveexec_b64 s[12:13], s[8:9]
	s_cbranch_execz .LBB29_114
; %bb.111:
	v_add_u32_e32 v1, s24, v1
	v_lshlrev_b32_e32 v6, 12, v1
	s_mov_b32 s10, 0x7ed55d16
	v_add3_u32 v1, v1, v6, s10
	v_lshrrev_b32_e32 v6, 19, v1
	v_xor_b32_e32 v1, v1, v6
	v_xor_b32_e32 v1, 0xc761c23c, v1
	v_lshl_add_u32 v1, v1, 5, v1
	v_mov_b32_e32 v10, 0xaccf6200
	v_add_u32_e32 v6, 0xe9f8cc1d, v1
	v_lshl_add_u32 v1, v1, 9, v10
	v_xor_b32_e32 v1, v6, v1
	v_lshlrev_b32_e32 v6, 3, v1
	s_mov_b32 s10, 0xfd7046c5
	v_add3_u32 v1, v1, v6, s10
	v_xor_b32_sdwa v1, v1, v1 dst_sel:DWORD dst_unused:UNUSED_PAD src0_sel:DWORD src1_sel:WORD_1
	v_xor_b32_e32 v1, 0xb55a4f09, v1
	v_mul_hi_u32 v6, v1, 3
	v_sub_u32_e32 v10, v1, v6
	v_lshrrev_b32_e32 v10, 1, v10
	v_add_u32_e32 v6, v10, v6
	v_lshrrev_b32_e32 v6, 30, v6
	s_brev_b32 s10, -2
	v_mul_lo_u32 v6, v6, s10
	v_sub_u32_e32 v1, v1, v6
	v_max_u32_e32 v10, 1, v1
	s_movk_i32 s14, 0x2710
	v_mov_b32_e32 v6, 0
	s_mov_b32 s15, 0xbc8f1391
	s_mov_b32 s16, 0xbc8f
	s_brev_b32 s17, 12
	s_mov_b32 s22, 0xf800000
	v_mov_b32_e32 v1, 0x260
.LBB29_112:                             ; =>This Inner Loop Header: Depth=1
	v_mul_hi_u32 v11, v10, s15
	v_lshrrev_b32_e32 v11, 15, v11
	v_mul_u32_u24_e32 v13, 0xadc8, v11
	v_sub_u32_e32 v10, v10, v13
	v_mul_u32_u24_e32 v11, 0xd47, v11
	v_mul_lo_u32 v10, v10, s16
	v_xor_b32_e32 v13, 0x7fffffff, v11
	v_sub_u32_e32 v14, 0, v11
	v_cmp_lt_u32_e32 vcc, v10, v11
	v_cndmask_b32_e32 v11, v14, v13, vcc
	v_add_u32_e32 v10, v11, v10
	v_mul_hi_u32 v13, v10, s15
	v_lshrrev_b32_e32 v13, 15, v13
	v_mul_u32_u24_e32 v14, 0xadc8, v13
	v_add_u32_e32 v11, -1, v10
	v_sub_u32_e32 v10, v10, v14
	v_mul_u32_u24_e32 v13, 0xd47, v13
	v_mul_lo_u32 v10, v10, s16
	v_xor_b32_e32 v14, 0x7fffffff, v13
	v_sub_u32_e32 v15, 0, v13
	v_cmp_lt_u32_e32 vcc, v10, v13
	v_cndmask_b32_e32 v13, v15, v14, vcc
	v_add_u32_e32 v10, v13, v10
	v_mul_hi_u32 v14, v10, s15
	v_add_u32_e32 v13, -1, v10
	v_lshrrev_b32_e32 v14, 15, v14
	v_cvt_f32_u32_e32 v13, v13
	v_mul_u32_u24_e32 v15, 0xadc8, v14
	v_cvt_f32_u32_e32 v11, v11
	v_sub_u32_e32 v10, v10, v15
	v_mul_u32_u24_e32 v14, 0xd47, v14
	v_mul_lo_u32 v10, v10, s16
	v_xor_b32_e32 v15, 0x7fffffff, v14
	v_sub_u32_e32 v16, 0, v14
	v_cmp_lt_u32_e32 vcc, v10, v14
	v_fma_f32 v13, v13, s17, 0
	v_cndmask_b32_e32 v14, v16, v15, vcc
	v_fma_f32 v11, v11, s17, 0
	v_mul_f32_e32 v13, v13, v13
	v_add_u32_e32 v10, v14, v10
	v_fmac_f32_e32 v13, v11, v11
	v_mul_hi_u32 v14, v10, s15
	v_mul_f32_e32 v15, 0x4f800000, v13
	v_lshrrev_b32_e32 v14, 15, v14
	v_cmp_gt_f32_e32 vcc, s22, v13
	v_cndmask_b32_e32 v13, v13, v15, vcc
	v_mul_u32_u24_e32 v15, 0xadc8, v14
	v_add_u32_e32 v11, -1, v10
	v_sqrt_f32_e32 v16, v13
	v_sub_u32_e32 v10, v10, v15
	v_mul_u32_u24_e32 v14, 0xd47, v14
	v_mul_lo_u32 v10, v10, s16
	v_xor_b32_e32 v15, 0x7fffffff, v14
	v_sub_u32_e32 v17, 0, v14
	v_cmp_lt_u32_e64 s[10:11], v10, v14
	v_cndmask_b32_e64 v14, v17, v15, s[10:11]
	v_add_u32_e32 v10, v14, v10
	v_add_u32_e32 v14, -1, v16
	v_add_u32_e32 v15, 1, v16
	v_add_u32_e32 v17, -1, v10
	v_fma_f32 v18, -v14, v16, v13
	v_fma_f32 v19, -v15, v16, v13
	v_cvt_f32_u32_e32 v17, v17
	v_cmp_ge_f32_e64 s[10:11], 0, v18
	v_cvt_f32_u32_e32 v11, v11
	v_cndmask_b32_e64 v14, v16, v14, s[10:11]
	v_cmp_lt_f32_e64 s[10:11], 0, v19
	v_cndmask_b32_e64 v14, v14, v15, s[10:11]
	v_mul_f32_e32 v15, 0x37800000, v14
	v_cndmask_b32_e32 v14, v14, v15, vcc
	v_fma_f32 v15, v17, s17, 0
	v_cmp_class_f32_e32 vcc, v13, v1
	v_fma_f32 v11, v11, s17, 0
	v_cndmask_b32_e32 v13, v14, v13, vcc
	v_mul_f32_e32 v14, v15, v15
	v_add_f32_e32 v12, 1.0, v6
	v_cmp_nge_f32_e32 vcc, 1.0, v13
	v_fmac_f32_e32 v14, v11, v11
	v_cndmask_b32_e32 v6, v12, v6, vcc
	v_mul_f32_e32 v11, 0x4f800000, v14
	v_cmp_gt_f32_e32 vcc, s22, v14
	v_cndmask_b32_e32 v11, v14, v11, vcc
	v_sqrt_f32_e32 v13, v11
	s_add_i32 s14, s14, -2
	v_add_f32_e32 v12, 1.0, v6
	s_cmp_lg_u32 s14, 0
	v_add_u32_e32 v14, -1, v13
	v_add_u32_e32 v15, 1, v13
	v_fma_f32 v16, -v14, v13, v11
	v_fma_f32 v17, -v15, v13, v11
	v_cmp_ge_f32_e64 s[10:11], 0, v16
	v_cndmask_b32_e64 v13, v13, v14, s[10:11]
	v_cmp_lt_f32_e64 s[10:11], 0, v17
	v_cndmask_b32_e64 v13, v13, v15, s[10:11]
	v_mul_f32_e32 v14, 0x37800000, v13
	v_cndmask_b32_e32 v13, v13, v14, vcc
	v_cmp_class_f32_e32 vcc, v11, v1
	v_cndmask_b32_e32 v11, v13, v11, vcc
	v_cmp_nge_f32_e32 vcc, 1.0, v11
	v_cndmask_b32_e32 v6, v12, v6, vcc
	s_cbranch_scc1 .LBB29_112
; %bb.113:
	v_mul_f32_e32 v1, 4.0, v6
	s_mov_b32 s14, 0x461c4000
	v_div_scale_f32 v6, s[10:11], s14, s14, v1
	v_rcp_f32_e32 v10, v6
	v_fma_f32 v11, -v6, v10, 1.0
	v_fmac_f32_e32 v10, v11, v10
	v_div_scale_f32 v11, vcc, v1, s14, v1
	v_mul_f32_e32 v12, v11, v10
	v_fma_f32 v13, -v6, v12, v11
	v_fmac_f32_e32 v12, v13, v10
	v_fma_f32 v6, -v6, v12, v11
	v_div_fmas_f32 v6, v6, v10, v12
	v_div_fixup_f32 v6, v6, s14, v1
.LBB29_114:
	s_or_b64 exec, exec, s[12:13]
	v_add_u32_e32 v1, 0x280, v0
	v_cmp_gt_u32_e64 s[10:11], s25, v1
	s_and_saveexec_b64 s[14:15], s[10:11]
	s_cbranch_execz .LBB29_118
; %bb.115:
	v_add_u32_e32 v1, s24, v1
	v_lshlrev_b32_e32 v7, 12, v1
	s_mov_b32 s12, 0x7ed55d16
	v_add3_u32 v1, v1, v7, s12
	v_lshrrev_b32_e32 v7, 19, v1
	v_xor_b32_e32 v1, v1, v7
	v_xor_b32_e32 v1, 0xc761c23c, v1
	v_lshl_add_u32 v1, v1, 5, v1
	v_mov_b32_e32 v10, 0xaccf6200
	v_add_u32_e32 v7, 0xe9f8cc1d, v1
	v_lshl_add_u32 v1, v1, 9, v10
	v_xor_b32_e32 v1, v7, v1
	v_lshlrev_b32_e32 v7, 3, v1
	s_mov_b32 s12, 0xfd7046c5
	v_add3_u32 v1, v1, v7, s12
	v_xor_b32_sdwa v1, v1, v1 dst_sel:DWORD dst_unused:UNUSED_PAD src0_sel:DWORD src1_sel:WORD_1
	v_xor_b32_e32 v1, 0xb55a4f09, v1
	v_mul_hi_u32 v7, v1, 3
	v_sub_u32_e32 v10, v1, v7
	v_lshrrev_b32_e32 v10, 1, v10
	v_add_u32_e32 v7, v10, v7
	v_lshrrev_b32_e32 v7, 30, v7
	s_brev_b32 s12, -2
	v_mul_lo_u32 v7, v7, s12
	v_sub_u32_e32 v1, v1, v7
	v_max_u32_e32 v10, 1, v1
	s_movk_i32 s16, 0x2710
	v_mov_b32_e32 v7, 0
	s_mov_b32 s17, 0xbc8f1391
	s_mov_b32 s22, 0xbc8f
	s_brev_b32 s23, 12
	s_mov_b32 s26, 0xf800000
	v_mov_b32_e32 v1, 0x260
.LBB29_116:                             ; =>This Inner Loop Header: Depth=1
	v_mul_hi_u32 v11, v10, s17
	v_lshrrev_b32_e32 v11, 15, v11
	v_mul_u32_u24_e32 v13, 0xadc8, v11
	v_sub_u32_e32 v10, v10, v13
	v_mul_u32_u24_e32 v11, 0xd47, v11
	v_mul_lo_u32 v10, v10, s22
	v_xor_b32_e32 v13, 0x7fffffff, v11
	v_sub_u32_e32 v14, 0, v11
	v_cmp_lt_u32_e32 vcc, v10, v11
	v_cndmask_b32_e32 v11, v14, v13, vcc
	v_add_u32_e32 v10, v11, v10
	v_mul_hi_u32 v13, v10, s17
	v_lshrrev_b32_e32 v13, 15, v13
	v_mul_u32_u24_e32 v14, 0xadc8, v13
	v_add_u32_e32 v11, -1, v10
	v_sub_u32_e32 v10, v10, v14
	v_mul_u32_u24_e32 v13, 0xd47, v13
	v_mul_lo_u32 v10, v10, s22
	v_xor_b32_e32 v14, 0x7fffffff, v13
	v_sub_u32_e32 v15, 0, v13
	v_cmp_lt_u32_e32 vcc, v10, v13
	v_cndmask_b32_e32 v13, v15, v14, vcc
	v_add_u32_e32 v10, v13, v10
	v_mul_hi_u32 v14, v10, s17
	v_add_u32_e32 v13, -1, v10
	v_lshrrev_b32_e32 v14, 15, v14
	v_cvt_f32_u32_e32 v13, v13
	v_mul_u32_u24_e32 v15, 0xadc8, v14
	v_cvt_f32_u32_e32 v11, v11
	v_sub_u32_e32 v10, v10, v15
	v_mul_u32_u24_e32 v14, 0xd47, v14
	v_mul_lo_u32 v10, v10, s22
	v_xor_b32_e32 v15, 0x7fffffff, v14
	v_sub_u32_e32 v16, 0, v14
	v_cmp_lt_u32_e32 vcc, v10, v14
	v_fma_f32 v13, v13, s23, 0
	v_cndmask_b32_e32 v14, v16, v15, vcc
	v_fma_f32 v11, v11, s23, 0
	v_mul_f32_e32 v13, v13, v13
	v_add_u32_e32 v10, v14, v10
	v_fmac_f32_e32 v13, v11, v11
	v_mul_hi_u32 v14, v10, s17
	v_mul_f32_e32 v15, 0x4f800000, v13
	v_lshrrev_b32_e32 v14, 15, v14
	v_cmp_gt_f32_e32 vcc, s26, v13
	v_cndmask_b32_e32 v13, v13, v15, vcc
	v_mul_u32_u24_e32 v15, 0xadc8, v14
	v_add_u32_e32 v11, -1, v10
	v_sqrt_f32_e32 v16, v13
	v_sub_u32_e32 v10, v10, v15
	v_mul_u32_u24_e32 v14, 0xd47, v14
	v_mul_lo_u32 v10, v10, s22
	v_xor_b32_e32 v15, 0x7fffffff, v14
	v_sub_u32_e32 v17, 0, v14
	v_cmp_lt_u32_e64 s[12:13], v10, v14
	v_cndmask_b32_e64 v14, v17, v15, s[12:13]
	v_add_u32_e32 v10, v14, v10
	v_add_u32_e32 v14, -1, v16
	v_add_u32_e32 v15, 1, v16
	v_add_u32_e32 v17, -1, v10
	v_fma_f32 v18, -v14, v16, v13
	v_fma_f32 v19, -v15, v16, v13
	v_cvt_f32_u32_e32 v17, v17
	v_cmp_ge_f32_e64 s[12:13], 0, v18
	v_cvt_f32_u32_e32 v11, v11
	v_cndmask_b32_e64 v14, v16, v14, s[12:13]
	v_cmp_lt_f32_e64 s[12:13], 0, v19
	v_cndmask_b32_e64 v14, v14, v15, s[12:13]
	v_mul_f32_e32 v15, 0x37800000, v14
	v_cndmask_b32_e32 v14, v14, v15, vcc
	v_fma_f32 v15, v17, s23, 0
	v_cmp_class_f32_e32 vcc, v13, v1
	v_fma_f32 v11, v11, s23, 0
	v_cndmask_b32_e32 v13, v14, v13, vcc
	v_mul_f32_e32 v14, v15, v15
	v_add_f32_e32 v12, 1.0, v7
	v_cmp_nge_f32_e32 vcc, 1.0, v13
	v_fmac_f32_e32 v14, v11, v11
	v_cndmask_b32_e32 v7, v12, v7, vcc
	v_mul_f32_e32 v11, 0x4f800000, v14
	v_cmp_gt_f32_e32 vcc, s26, v14
	v_cndmask_b32_e32 v11, v14, v11, vcc
	v_sqrt_f32_e32 v13, v11
	s_add_i32 s16, s16, -2
	v_add_f32_e32 v12, 1.0, v7
	s_cmp_lg_u32 s16, 0
	v_add_u32_e32 v14, -1, v13
	v_add_u32_e32 v15, 1, v13
	v_fma_f32 v16, -v14, v13, v11
	v_fma_f32 v17, -v15, v13, v11
	v_cmp_ge_f32_e64 s[12:13], 0, v16
	v_cndmask_b32_e64 v13, v13, v14, s[12:13]
	v_cmp_lt_f32_e64 s[12:13], 0, v17
	v_cndmask_b32_e64 v13, v13, v15, s[12:13]
	v_mul_f32_e32 v14, 0x37800000, v13
	v_cndmask_b32_e32 v13, v13, v14, vcc
	v_cmp_class_f32_e32 vcc, v11, v1
	v_cndmask_b32_e32 v11, v13, v11, vcc
	v_cmp_nge_f32_e32 vcc, 1.0, v11
	v_cndmask_b32_e32 v7, v12, v7, vcc
	s_cbranch_scc1 .LBB29_116
; %bb.117:
	v_mul_f32_e32 v1, 4.0, v7
	s_mov_b32 s16, 0x461c4000
	v_div_scale_f32 v7, s[12:13], s16, s16, v1
	v_rcp_f32_e32 v10, v7
	v_fma_f32 v11, -v7, v10, 1.0
	v_fmac_f32_e32 v10, v11, v10
	v_div_scale_f32 v11, vcc, v1, s16, v1
	v_mul_f32_e32 v12, v11, v10
	v_fma_f32 v13, -v7, v12, v11
	v_fmac_f32_e32 v12, v13, v10
	v_fma_f32 v7, -v7, v12, v11
	v_div_fmas_f32 v7, v7, v10, v12
	v_div_fixup_f32 v7, v7, s16, v1
.LBB29_118:
	s_or_b64 exec, exec, s[14:15]
	v_add_u32_e32 v1, 0x300, v0
	v_cmp_gt_u32_e64 s[12:13], s25, v1
	s_and_saveexec_b64 s[16:17], s[12:13]
	s_cbranch_execz .LBB29_122
; %bb.119:
	v_add_u32_e32 v1, s24, v1
	v_lshlrev_b32_e32 v8, 12, v1
	s_mov_b32 s14, 0x7ed55d16
	v_add3_u32 v1, v1, v8, s14
	v_lshrrev_b32_e32 v8, 19, v1
	v_xor_b32_e32 v1, v1, v8
	v_xor_b32_e32 v1, 0xc761c23c, v1
	v_lshl_add_u32 v1, v1, 5, v1
	v_mov_b32_e32 v10, 0xaccf6200
	v_add_u32_e32 v8, 0xe9f8cc1d, v1
	v_lshl_add_u32 v1, v1, 9, v10
	v_xor_b32_e32 v1, v8, v1
	v_lshlrev_b32_e32 v8, 3, v1
	s_mov_b32 s14, 0xfd7046c5
	v_add3_u32 v1, v1, v8, s14
	v_xor_b32_sdwa v1, v1, v1 dst_sel:DWORD dst_unused:UNUSED_PAD src0_sel:DWORD src1_sel:WORD_1
	v_xor_b32_e32 v1, 0xb55a4f09, v1
	v_mul_hi_u32 v8, v1, 3
	v_sub_u32_e32 v10, v1, v8
	v_lshrrev_b32_e32 v10, 1, v10
	v_add_u32_e32 v8, v10, v8
	v_lshrrev_b32_e32 v8, 30, v8
	s_brev_b32 s14, -2
	v_mul_lo_u32 v8, v8, s14
	v_sub_u32_e32 v1, v1, v8
	v_max_u32_e32 v10, 1, v1
	s_movk_i32 s22, 0x2710
	v_mov_b32_e32 v8, 0
	s_mov_b32 s23, 0xbc8f1391
	s_mov_b32 s26, 0xbc8f
	s_brev_b32 s27, 12
	s_mov_b32 s28, 0xf800000
	v_mov_b32_e32 v1, 0x260
.LBB29_120:                             ; =>This Inner Loop Header: Depth=1
	v_mul_hi_u32 v11, v10, s23
	v_lshrrev_b32_e32 v11, 15, v11
	v_mul_u32_u24_e32 v13, 0xadc8, v11
	v_sub_u32_e32 v10, v10, v13
	v_mul_u32_u24_e32 v11, 0xd47, v11
	v_mul_lo_u32 v10, v10, s26
	v_xor_b32_e32 v13, 0x7fffffff, v11
	v_sub_u32_e32 v14, 0, v11
	v_cmp_lt_u32_e32 vcc, v10, v11
	v_cndmask_b32_e32 v11, v14, v13, vcc
	v_add_u32_e32 v10, v11, v10
	v_mul_hi_u32 v13, v10, s23
	v_lshrrev_b32_e32 v13, 15, v13
	v_mul_u32_u24_e32 v14, 0xadc8, v13
	v_add_u32_e32 v11, -1, v10
	v_sub_u32_e32 v10, v10, v14
	v_mul_u32_u24_e32 v13, 0xd47, v13
	v_mul_lo_u32 v10, v10, s26
	v_xor_b32_e32 v14, 0x7fffffff, v13
	v_sub_u32_e32 v15, 0, v13
	v_cmp_lt_u32_e32 vcc, v10, v13
	v_cndmask_b32_e32 v13, v15, v14, vcc
	v_add_u32_e32 v10, v13, v10
	v_mul_hi_u32 v14, v10, s23
	v_add_u32_e32 v13, -1, v10
	v_lshrrev_b32_e32 v14, 15, v14
	v_cvt_f32_u32_e32 v13, v13
	v_mul_u32_u24_e32 v15, 0xadc8, v14
	v_cvt_f32_u32_e32 v11, v11
	v_sub_u32_e32 v10, v10, v15
	v_mul_u32_u24_e32 v14, 0xd47, v14
	v_mul_lo_u32 v10, v10, s26
	v_xor_b32_e32 v15, 0x7fffffff, v14
	v_sub_u32_e32 v16, 0, v14
	v_cmp_lt_u32_e32 vcc, v10, v14
	v_fma_f32 v13, v13, s27, 0
	v_cndmask_b32_e32 v14, v16, v15, vcc
	v_fma_f32 v11, v11, s27, 0
	v_mul_f32_e32 v13, v13, v13
	v_add_u32_e32 v10, v14, v10
	v_fmac_f32_e32 v13, v11, v11
	v_mul_hi_u32 v14, v10, s23
	v_mul_f32_e32 v15, 0x4f800000, v13
	v_lshrrev_b32_e32 v14, 15, v14
	v_cmp_gt_f32_e32 vcc, s28, v13
	v_cndmask_b32_e32 v13, v13, v15, vcc
	v_mul_u32_u24_e32 v15, 0xadc8, v14
	v_add_u32_e32 v11, -1, v10
	v_sqrt_f32_e32 v16, v13
	v_sub_u32_e32 v10, v10, v15
	v_mul_u32_u24_e32 v14, 0xd47, v14
	v_mul_lo_u32 v10, v10, s26
	v_xor_b32_e32 v15, 0x7fffffff, v14
	v_sub_u32_e32 v17, 0, v14
	v_cmp_lt_u32_e64 s[14:15], v10, v14
	v_cndmask_b32_e64 v14, v17, v15, s[14:15]
	v_add_u32_e32 v10, v14, v10
	v_add_u32_e32 v14, -1, v16
	v_add_u32_e32 v15, 1, v16
	v_add_u32_e32 v17, -1, v10
	v_fma_f32 v18, -v14, v16, v13
	v_fma_f32 v19, -v15, v16, v13
	v_cvt_f32_u32_e32 v17, v17
	v_cmp_ge_f32_e64 s[14:15], 0, v18
	v_cvt_f32_u32_e32 v11, v11
	v_cndmask_b32_e64 v14, v16, v14, s[14:15]
	v_cmp_lt_f32_e64 s[14:15], 0, v19
	v_cndmask_b32_e64 v14, v14, v15, s[14:15]
	v_mul_f32_e32 v15, 0x37800000, v14
	v_cndmask_b32_e32 v14, v14, v15, vcc
	v_fma_f32 v15, v17, s27, 0
	v_cmp_class_f32_e32 vcc, v13, v1
	v_fma_f32 v11, v11, s27, 0
	v_cndmask_b32_e32 v13, v14, v13, vcc
	v_mul_f32_e32 v14, v15, v15
	v_add_f32_e32 v12, 1.0, v8
	v_cmp_nge_f32_e32 vcc, 1.0, v13
	v_fmac_f32_e32 v14, v11, v11
	v_cndmask_b32_e32 v8, v12, v8, vcc
	v_mul_f32_e32 v11, 0x4f800000, v14
	v_cmp_gt_f32_e32 vcc, s28, v14
	v_cndmask_b32_e32 v11, v14, v11, vcc
	v_sqrt_f32_e32 v13, v11
	s_add_i32 s22, s22, -2
	v_add_f32_e32 v12, 1.0, v8
	s_cmp_lg_u32 s22, 0
	v_add_u32_e32 v14, -1, v13
	v_add_u32_e32 v15, 1, v13
	v_fma_f32 v16, -v14, v13, v11
	v_fma_f32 v17, -v15, v13, v11
	v_cmp_ge_f32_e64 s[14:15], 0, v16
	v_cndmask_b32_e64 v13, v13, v14, s[14:15]
	v_cmp_lt_f32_e64 s[14:15], 0, v17
	v_cndmask_b32_e64 v13, v13, v15, s[14:15]
	v_mul_f32_e32 v14, 0x37800000, v13
	v_cndmask_b32_e32 v13, v13, v14, vcc
	v_cmp_class_f32_e32 vcc, v11, v1
	v_cndmask_b32_e32 v11, v13, v11, vcc
	v_cmp_nge_f32_e32 vcc, 1.0, v11
	v_cndmask_b32_e32 v8, v12, v8, vcc
	s_cbranch_scc1 .LBB29_120
; %bb.121:
	v_mul_f32_e32 v1, 4.0, v8
	s_mov_b32 s22, 0x461c4000
	v_div_scale_f32 v8, s[14:15], s22, s22, v1
	v_rcp_f32_e32 v10, v8
	v_fma_f32 v11, -v8, v10, 1.0
	v_fmac_f32_e32 v10, v11, v10
	v_div_scale_f32 v11, vcc, v1, s22, v1
	v_mul_f32_e32 v12, v11, v10
	v_fma_f32 v13, -v8, v12, v11
	v_fmac_f32_e32 v12, v13, v10
	v_fma_f32 v8, -v8, v12, v11
	v_div_fmas_f32 v8, v8, v10, v12
	v_div_fixup_f32 v8, v8, s22, v1
.LBB29_122:
	s_or_b64 exec, exec, s[16:17]
	v_add_u32_e32 v1, 0x380, v0
	v_cmp_gt_u32_e64 s[14:15], s25, v1
	s_and_saveexec_b64 s[22:23], s[14:15]
	s_cbranch_execz .LBB29_126
; %bb.123:
	v_add_u32_e32 v1, s24, v1
	v_lshlrev_b32_e32 v9, 12, v1
	s_mov_b32 s16, 0x7ed55d16
	v_add3_u32 v1, v1, v9, s16
	v_lshrrev_b32_e32 v9, 19, v1
	v_xor_b32_e32 v1, v1, v9
	v_xor_b32_e32 v1, 0xc761c23c, v1
	v_lshl_add_u32 v1, v1, 5, v1
	v_mov_b32_e32 v10, 0xaccf6200
	v_add_u32_e32 v9, 0xe9f8cc1d, v1
	v_lshl_add_u32 v1, v1, 9, v10
	v_xor_b32_e32 v1, v9, v1
	v_lshlrev_b32_e32 v9, 3, v1
	s_mov_b32 s16, 0xfd7046c5
	v_add3_u32 v1, v1, v9, s16
	v_xor_b32_sdwa v1, v1, v1 dst_sel:DWORD dst_unused:UNUSED_PAD src0_sel:DWORD src1_sel:WORD_1
	v_xor_b32_e32 v1, 0xb55a4f09, v1
	v_mul_hi_u32 v9, v1, 3
	v_sub_u32_e32 v10, v1, v9
	v_lshrrev_b32_e32 v10, 1, v10
	v_add_u32_e32 v9, v10, v9
	v_lshrrev_b32_e32 v9, 30, v9
	s_brev_b32 s16, -2
	v_mul_lo_u32 v9, v9, s16
	v_sub_u32_e32 v1, v1, v9
	v_max_u32_e32 v10, 1, v1
	s_movk_i32 s24, 0x2710
	v_mov_b32_e32 v9, 0
	s_mov_b32 s26, 0xbc8f1391
	s_mov_b32 s27, 0xbc8f
	s_brev_b32 s28, 12
	s_mov_b32 s29, 0xf800000
	v_mov_b32_e32 v1, 0x260
.LBB29_124:                             ; =>This Inner Loop Header: Depth=1
	v_mul_hi_u32 v11, v10, s26
	v_lshrrev_b32_e32 v11, 15, v11
	v_mul_u32_u24_e32 v13, 0xadc8, v11
	v_sub_u32_e32 v10, v10, v13
	v_mul_u32_u24_e32 v11, 0xd47, v11
	v_mul_lo_u32 v10, v10, s27
	v_xor_b32_e32 v13, 0x7fffffff, v11
	v_sub_u32_e32 v14, 0, v11
	v_cmp_lt_u32_e32 vcc, v10, v11
	v_cndmask_b32_e32 v11, v14, v13, vcc
	v_add_u32_e32 v10, v11, v10
	v_mul_hi_u32 v13, v10, s26
	v_lshrrev_b32_e32 v13, 15, v13
	v_mul_u32_u24_e32 v14, 0xadc8, v13
	v_add_u32_e32 v11, -1, v10
	v_sub_u32_e32 v10, v10, v14
	v_mul_u32_u24_e32 v13, 0xd47, v13
	v_mul_lo_u32 v10, v10, s27
	v_xor_b32_e32 v14, 0x7fffffff, v13
	v_sub_u32_e32 v15, 0, v13
	v_cmp_lt_u32_e32 vcc, v10, v13
	v_cndmask_b32_e32 v13, v15, v14, vcc
	v_add_u32_e32 v10, v13, v10
	v_mul_hi_u32 v14, v10, s26
	v_add_u32_e32 v13, -1, v10
	v_lshrrev_b32_e32 v14, 15, v14
	v_cvt_f32_u32_e32 v13, v13
	v_mul_u32_u24_e32 v15, 0xadc8, v14
	v_cvt_f32_u32_e32 v11, v11
	v_sub_u32_e32 v10, v10, v15
	v_mul_u32_u24_e32 v14, 0xd47, v14
	v_mul_lo_u32 v10, v10, s27
	v_xor_b32_e32 v15, 0x7fffffff, v14
	v_sub_u32_e32 v16, 0, v14
	v_cmp_lt_u32_e32 vcc, v10, v14
	v_fma_f32 v13, v13, s28, 0
	v_cndmask_b32_e32 v14, v16, v15, vcc
	v_fma_f32 v11, v11, s28, 0
	v_mul_f32_e32 v13, v13, v13
	v_add_u32_e32 v10, v14, v10
	v_fmac_f32_e32 v13, v11, v11
	v_mul_hi_u32 v14, v10, s26
	v_mul_f32_e32 v15, 0x4f800000, v13
	v_lshrrev_b32_e32 v14, 15, v14
	v_cmp_gt_f32_e32 vcc, s29, v13
	v_cndmask_b32_e32 v13, v13, v15, vcc
	v_mul_u32_u24_e32 v15, 0xadc8, v14
	v_add_u32_e32 v11, -1, v10
	v_sqrt_f32_e32 v16, v13
	v_sub_u32_e32 v10, v10, v15
	v_mul_u32_u24_e32 v14, 0xd47, v14
	v_mul_lo_u32 v10, v10, s27
	v_xor_b32_e32 v15, 0x7fffffff, v14
	v_sub_u32_e32 v17, 0, v14
	v_cmp_lt_u32_e64 s[16:17], v10, v14
	v_cndmask_b32_e64 v14, v17, v15, s[16:17]
	v_add_u32_e32 v10, v14, v10
	v_add_u32_e32 v14, -1, v16
	v_add_u32_e32 v15, 1, v16
	v_add_u32_e32 v17, -1, v10
	v_fma_f32 v18, -v14, v16, v13
	v_fma_f32 v19, -v15, v16, v13
	v_cvt_f32_u32_e32 v17, v17
	v_cmp_ge_f32_e64 s[16:17], 0, v18
	v_cvt_f32_u32_e32 v11, v11
	v_cndmask_b32_e64 v14, v16, v14, s[16:17]
	v_cmp_lt_f32_e64 s[16:17], 0, v19
	v_cndmask_b32_e64 v14, v14, v15, s[16:17]
	v_mul_f32_e32 v15, 0x37800000, v14
	v_cndmask_b32_e32 v14, v14, v15, vcc
	v_fma_f32 v15, v17, s28, 0
	v_cmp_class_f32_e32 vcc, v13, v1
	v_fma_f32 v11, v11, s28, 0
	v_cndmask_b32_e32 v13, v14, v13, vcc
	v_mul_f32_e32 v14, v15, v15
	v_add_f32_e32 v12, 1.0, v9
	v_cmp_nge_f32_e32 vcc, 1.0, v13
	v_fmac_f32_e32 v14, v11, v11
	v_cndmask_b32_e32 v9, v12, v9, vcc
	v_mul_f32_e32 v11, 0x4f800000, v14
	v_cmp_gt_f32_e32 vcc, s29, v14
	v_cndmask_b32_e32 v11, v14, v11, vcc
	v_sqrt_f32_e32 v13, v11
	s_add_i32 s24, s24, -2
	v_add_f32_e32 v12, 1.0, v9
	s_cmp_lg_u32 s24, 0
	v_add_u32_e32 v14, -1, v13
	v_add_u32_e32 v15, 1, v13
	v_fma_f32 v16, -v14, v13, v11
	v_fma_f32 v17, -v15, v13, v11
	v_cmp_ge_f32_e64 s[16:17], 0, v16
	v_cndmask_b32_e64 v13, v13, v14, s[16:17]
	v_cmp_lt_f32_e64 s[16:17], 0, v17
	v_cndmask_b32_e64 v13, v13, v15, s[16:17]
	v_mul_f32_e32 v14, 0x37800000, v13
	v_cndmask_b32_e32 v13, v13, v14, vcc
	v_cmp_class_f32_e32 vcc, v11, v1
	v_cndmask_b32_e32 v11, v13, v11, vcc
	v_cmp_nge_f32_e32 vcc, 1.0, v11
	v_cndmask_b32_e32 v9, v12, v9, vcc
	s_cbranch_scc1 .LBB29_124
; %bb.125:
	v_mul_f32_e32 v1, 4.0, v9
	s_mov_b32 s24, 0x461c4000
	v_div_scale_f32 v9, s[16:17], s24, s24, v1
	v_rcp_f32_e32 v10, v9
	v_fma_f32 v11, -v9, v10, 1.0
	v_fmac_f32_e32 v10, v11, v10
	v_div_scale_f32 v11, vcc, v1, s24, v1
	v_mul_f32_e32 v12, v11, v10
	v_fma_f32 v13, -v9, v12, v11
	v_fmac_f32_e32 v12, v13, v10
	v_fma_f32 v9, -v9, v12, v11
	v_div_fmas_f32 v9, v9, v10, v12
	v_div_fixup_f32 v9, v9, s24, v1
.LBB29_126:
	s_or_b64 exec, exec, s[22:23]
	v_add_f32_e32 v1, v2, v3
	v_cndmask_b32_e64 v1, v2, v1, s[0:1]
	v_add_f32_e32 v2, v4, v1
	v_cndmask_b32_e64 v1, v1, v2, s[2:3]
	;; [unrolled: 2-line block ×7, first 2 shown]
	v_mbcnt_lo_u32_b32 v1, -1, 0
	v_mbcnt_hi_u32_b32 v1, -1, v1
	v_and_b32_e32 v3, 63, v1
	v_cmp_ne_u32_e32 vcc, 63, v3
	v_addc_co_u32_e32 v4, vcc, 0, v1, vcc
	v_lshlrev_b32_e32 v4, 2, v4
	ds_bpermute_b32 v4, v4, v2
	s_min_u32 s2, s25, 0x80
	v_and_b32_e32 v5, 0x3c0, v0
	v_sub_u32_e64 v5, s2, v5 clamp
	v_add_u32_e32 v6, 1, v3
	v_cmp_gt_u32_e64 s[0:1], 62, v3
	v_cmp_lt_u32_e32 vcc, v6, v5
	v_cndmask_b32_e64 v6, 0, 1, s[0:1]
	s_waitcnt lgkmcnt(0)
	v_add_f32_e32 v4, v2, v4
	v_lshlrev_b32_e32 v6, 1, v6
	v_cndmask_b32_e32 v4, v2, v4, vcc
	v_add_lshl_u32 v6, v6, v1, 2
	ds_bpermute_b32 v6, v6, v4
	v_add_u32_e32 v7, 2, v3
	v_cmp_lt_u32_e64 s[0:1], v7, v5
	v_add_u32_e32 v7, 4, v3
	s_waitcnt lgkmcnt(0)
	v_add_f32_e32 v6, v4, v6
	v_cndmask_b32_e64 v4, v4, v6, s[0:1]
	v_cmp_gt_u32_e64 s[0:1], 60, v3
	v_cndmask_b32_e64 v6, 0, 1, s[0:1]
	v_lshlrev_b32_e32 v6, 2, v6
	v_add_lshl_u32 v6, v6, v1, 2
	ds_bpermute_b32 v6, v6, v4
	v_cmp_lt_u32_e64 s[0:1], v7, v5
	v_add_u32_e32 v7, 8, v3
	s_waitcnt lgkmcnt(0)
	v_add_f32_e32 v6, v4, v6
	v_cndmask_b32_e64 v4, v4, v6, s[0:1]
	v_cmp_gt_u32_e64 s[0:1], 56, v3
	v_cndmask_b32_e64 v6, 0, 1, s[0:1]
	v_lshlrev_b32_e32 v6, 3, v6
	v_add_lshl_u32 v6, v6, v1, 2
	ds_bpermute_b32 v6, v6, v4
	;; [unrolled: 10-line block ×3, first 2 shown]
	v_cmp_lt_u32_e64 s[0:1], v7, v5
	s_waitcnt lgkmcnt(0)
	v_add_f32_e32 v6, v4, v6
	v_cndmask_b32_e64 v4, v4, v6, s[0:1]
	v_cmp_gt_u32_e64 s[0:1], 32, v3
	v_cndmask_b32_e64 v6, 0, 1, s[0:1]
	v_lshlrev_b32_e32 v6, 5, v6
	v_add_lshl_u32 v6, v6, v1, 2
	ds_bpermute_b32 v6, v6, v4
	v_add_u32_e32 v3, 32, v3
	v_cmp_lt_u32_e64 s[0:1], v3, v5
	s_waitcnt lgkmcnt(0)
	v_add_f32_e32 v6, v4, v6
	v_cndmask_b32_e64 v3, v4, v6, s[0:1]
	v_cndmask_b32_e32 v2, v2, v3, vcc
	v_cmp_eq_u32_e32 vcc, 0, v1
	s_and_saveexec_b64 s[0:1], vcc
	s_cbranch_execz .LBB29_128
; %bb.127:
	v_lshrrev_b32_e32 v3, 4, v0
	v_and_b32_e32 v3, 0xffffffc, v3
	ds_write_b32 v3, v2 offset:48
.LBB29_128:
	s_or_b64 exec, exec, s[0:1]
	v_cmp_gt_u32_e32 vcc, 2, v0
	s_waitcnt lgkmcnt(0)
	s_barrier
	s_and_saveexec_b64 s[0:1], vcc
	s_cbranch_execz .LBB29_130
; %bb.129:
	v_lshlrev_b32_e32 v2, 2, v1
	ds_read_b32 v3, v2 offset:48
	v_or_b32_e32 v2, 4, v2
	s_add_i32 s2, s2, 63
	v_and_b32_e32 v1, 1, v1
	s_lshr_b32 s2, s2, 6
	s_waitcnt lgkmcnt(0)
	ds_bpermute_b32 v2, v2, v3
	v_add_u32_e32 v1, 1, v1
	v_cmp_gt_u32_e32 vcc, s2, v1
	s_waitcnt lgkmcnt(0)
	v_add_f32_e32 v2, v3, v2
	v_cndmask_b32_e32 v2, v3, v2, vcc
.LBB29_130:
	s_or_b64 exec, exec, s[0:1]
.LBB29_131:
	v_cmp_eq_u32_e32 vcc, 0, v0
	s_and_saveexec_b64 s[0:1], vcc
	s_cbranch_execnz .LBB29_134
; %bb.132:
	s_or_b64 exec, exec, s[0:1]
	s_cmp_lt_i32 s72, 32
	s_cbranch_scc1 .LBB29_135
.LBB29_133:
	s_cmp_eq_u32 s72, 32
	s_cselect_b64 s[18:19], -1, 0
	s_cbranch_execz .LBB29_136
	s_branch .LBB29_137
.LBB29_134:
	s_cmp_eq_u64 s[68:69], 0
	s_cselect_b64 vcc, -1, 0
	s_lshl_b64 s[2:3], s[6:7], 2
	v_add_f32_e32 v1, s33, v2
	v_mov_b32_e32 v2, s33
	s_add_u32 s2, s70, s2
	v_cndmask_b32_e32 v1, v1, v2, vcc
	s_addc_u32 s3, s71, s3
	v_mov_b32_e32 v2, 0
	global_store_dword v2, v1, s[2:3]
	s_or_b64 exec, exec, s[0:1]
	s_cmp_lt_i32 s72, 32
	s_cbranch_scc0 .LBB29_133
.LBB29_135:
.LBB29_136:
	s_cmp_eq_u32 s72, 16
	s_cselect_b64 s[20:21], -1, 0
.LBB29_137:
	s_and_b64 vcc, exec, s[20:21]
	s_cbranch_vccnz .LBB29_140
; %bb.138:
	s_and_b64 vcc, exec, s[18:19]
	s_cbranch_vccnz .LBB29_251
.LBB29_139:
	s_and_b64 vcc, exec, s[76:77]
	s_cbranch_vccnz .LBB29_458
	s_branch .LBB29_486
.LBB29_140:
	s_lshl_b32 s2, s6, 11
	s_lshr_b64 s[0:1], s[68:69], 11
	s_add_i32 s38, s73, s2
	s_cmp_lg_u64 s[0:1], s[6:7]
	s_cbranch_scc0 .LBB29_178
; %bb.141:
	v_add_u32_e32 v2, s38, v0
	v_lshlrev_b32_e32 v1, 12, v2
	s_mov_b32 s0, 0x7ed55d16
	v_add3_u32 v1, v2, v1, s0
	v_lshrrev_b32_e32 v3, 19, v1
	v_xor_b32_e32 v1, v1, v3
	v_xor_b32_e32 v1, 0xc761c23c, v1
	v_lshl_add_u32 v1, v1, 5, v1
	v_mov_b32_e32 v4, 0xaccf6200
	v_add_u32_e32 v3, 0xe9f8cc1d, v1
	v_lshl_add_u32 v1, v1, 9, v4
	v_xor_b32_e32 v1, v3, v1
	v_lshlrev_b32_e32 v3, 3, v1
	s_mov_b32 s0, 0xfd7046c5
	v_add3_u32 v1, v1, v3, s0
	v_xor_b32_sdwa v1, v1, v1 dst_sel:DWORD dst_unused:UNUSED_PAD src0_sel:DWORD src1_sel:WORD_1
	v_xor_b32_e32 v1, 0xb55a4f09, v1
	v_mul_hi_u32 v3, v1, 3
	v_sub_u32_e32 v4, v1, v3
	v_lshrrev_b32_e32 v4, 1, v4
	v_add_u32_e32 v3, v4, v3
	v_lshrrev_b32_e32 v3, 30, v3
	s_brev_b32 s0, -2
	v_mul_lo_u32 v3, v3, s0
	v_sub_u32_e32 v1, v1, v3
	v_max_u32_e32 v4, 1, v1
	s_movk_i32 s3, 0x2710
	v_mov_b32_e32 v1, 0
	s_mov_b32 s4, 0xbc8f1391
	s_mov_b32 s5, 0xbc8f
	s_brev_b32 s8, 12
	s_mov_b32 s9, 0xf800000
	v_mov_b32_e32 v3, 0x260
.LBB29_142:                             ; =>This Inner Loop Header: Depth=1
	v_mul_hi_u32 v5, v4, s4
	v_lshrrev_b32_e32 v5, 15, v5
	v_mul_u32_u24_e32 v7, 0xadc8, v5
	v_sub_u32_e32 v4, v4, v7
	v_mul_u32_u24_e32 v5, 0xd47, v5
	v_mul_lo_u32 v4, v4, s5
	v_xor_b32_e32 v7, 0x7fffffff, v5
	v_sub_u32_e32 v8, 0, v5
	v_cmp_lt_u32_e32 vcc, v4, v5
	v_cndmask_b32_e32 v5, v8, v7, vcc
	v_add_u32_e32 v4, v5, v4
	v_mul_hi_u32 v7, v4, s4
	v_lshrrev_b32_e32 v7, 15, v7
	v_mul_u32_u24_e32 v8, 0xadc8, v7
	v_add_u32_e32 v5, -1, v4
	v_sub_u32_e32 v4, v4, v8
	v_mul_u32_u24_e32 v7, 0xd47, v7
	v_mul_lo_u32 v4, v4, s5
	v_xor_b32_e32 v8, 0x7fffffff, v7
	v_sub_u32_e32 v9, 0, v7
	v_cmp_lt_u32_e32 vcc, v4, v7
	v_cndmask_b32_e32 v7, v9, v8, vcc
	v_add_u32_e32 v4, v7, v4
	v_mul_hi_u32 v8, v4, s4
	v_add_u32_e32 v7, -1, v4
	v_lshrrev_b32_e32 v8, 15, v8
	v_cvt_f32_u32_e32 v7, v7
	v_mul_u32_u24_e32 v9, 0xadc8, v8
	v_cvt_f32_u32_e32 v5, v5
	v_sub_u32_e32 v4, v4, v9
	v_mul_u32_u24_e32 v8, 0xd47, v8
	v_mul_lo_u32 v4, v4, s5
	v_xor_b32_e32 v9, 0x7fffffff, v8
	v_sub_u32_e32 v10, 0, v8
	v_cmp_lt_u32_e32 vcc, v4, v8
	v_fma_f32 v7, v7, s8, 0
	v_cndmask_b32_e32 v8, v10, v9, vcc
	v_fma_f32 v5, v5, s8, 0
	v_mul_f32_e32 v7, v7, v7
	v_add_u32_e32 v4, v8, v4
	v_fmac_f32_e32 v7, v5, v5
	v_mul_hi_u32 v8, v4, s4
	v_mul_f32_e32 v9, 0x4f800000, v7
	v_lshrrev_b32_e32 v8, 15, v8
	v_cmp_gt_f32_e32 vcc, s9, v7
	v_cndmask_b32_e32 v7, v7, v9, vcc
	v_mul_u32_u24_e32 v9, 0xadc8, v8
	v_add_u32_e32 v5, -1, v4
	v_sqrt_f32_e32 v10, v7
	v_sub_u32_e32 v4, v4, v9
	v_mul_u32_u24_e32 v8, 0xd47, v8
	v_mul_lo_u32 v4, v4, s5
	v_xor_b32_e32 v9, 0x7fffffff, v8
	v_sub_u32_e32 v11, 0, v8
	v_cmp_lt_u32_e64 s[0:1], v4, v8
	v_cndmask_b32_e64 v8, v11, v9, s[0:1]
	v_add_u32_e32 v4, v8, v4
	v_add_u32_e32 v8, -1, v10
	v_add_u32_e32 v9, 1, v10
	v_add_u32_e32 v11, -1, v4
	v_fma_f32 v12, -v8, v10, v7
	v_fma_f32 v13, -v9, v10, v7
	v_cvt_f32_u32_e32 v11, v11
	v_cmp_ge_f32_e64 s[0:1], 0, v12
	v_cvt_f32_u32_e32 v5, v5
	v_cndmask_b32_e64 v8, v10, v8, s[0:1]
	v_cmp_lt_f32_e64 s[0:1], 0, v13
	v_cndmask_b32_e64 v8, v8, v9, s[0:1]
	v_mul_f32_e32 v9, 0x37800000, v8
	v_cndmask_b32_e32 v8, v8, v9, vcc
	v_fma_f32 v9, v11, s8, 0
	v_cmp_class_f32_e32 vcc, v7, v3
	v_fma_f32 v5, v5, s8, 0
	v_cndmask_b32_e32 v7, v8, v7, vcc
	v_mul_f32_e32 v8, v9, v9
	v_add_f32_e32 v6, 1.0, v1
	v_cmp_nge_f32_e32 vcc, 1.0, v7
	v_fmac_f32_e32 v8, v5, v5
	v_cndmask_b32_e32 v1, v6, v1, vcc
	v_mul_f32_e32 v5, 0x4f800000, v8
	v_cmp_gt_f32_e32 vcc, s9, v8
	v_cndmask_b32_e32 v5, v8, v5, vcc
	v_sqrt_f32_e32 v7, v5
	s_add_i32 s3, s3, -2
	v_add_f32_e32 v6, 1.0, v1
	s_cmp_lg_u32 s3, 0
	v_add_u32_e32 v8, -1, v7
	v_add_u32_e32 v9, 1, v7
	v_fma_f32 v10, -v8, v7, v5
	v_fma_f32 v11, -v9, v7, v5
	v_cmp_ge_f32_e64 s[0:1], 0, v10
	v_cndmask_b32_e64 v7, v7, v8, s[0:1]
	v_cmp_lt_f32_e64 s[0:1], 0, v11
	v_cndmask_b32_e64 v7, v7, v9, s[0:1]
	v_mul_f32_e32 v8, 0x37800000, v7
	v_cndmask_b32_e32 v7, v7, v8, vcc
	v_cmp_class_f32_e32 vcc, v5, v3
	v_cndmask_b32_e32 v5, v7, v5, vcc
	v_cmp_nge_f32_e32 vcc, 1.0, v5
	v_cndmask_b32_e32 v1, v6, v1, vcc
	s_cbranch_scc1 .LBB29_142
; %bb.143:
	v_lshl_add_u32 v4, v2, 12, v2
	v_add_u32_e32 v2, 0x7edd5d96, v4
	v_lshrrev_b32_e32 v3, 19, v2
	v_xor_b32_e32 v2, v2, v3
	v_xor_b32_e32 v2, 0xc761c23c, v2
	v_lshl_add_u32 v2, v2, 5, v2
	v_mov_b32_e32 v5, 0xaccf6200
	v_add_u32_e32 v3, 0xe9f8cc1d, v2
	v_lshl_add_u32 v2, v2, 9, v5
	v_xor_b32_e32 v2, v3, v2
	v_lshlrev_b32_e32 v3, 3, v2
	s_mov_b32 s0, 0xfd7046c5
	v_add3_u32 v2, v2, v3, s0
	v_xor_b32_sdwa v2, v2, v2 dst_sel:DWORD dst_unused:UNUSED_PAD src0_sel:DWORD src1_sel:WORD_1
	v_xor_b32_e32 v2, 0xb55a4f09, v2
	v_mul_hi_u32 v3, v2, 3
	v_sub_u32_e32 v5, v2, v3
	v_lshrrev_b32_e32 v5, 1, v5
	v_add_u32_e32 v3, v5, v3
	v_lshrrev_b32_e32 v3, 30, v3
	s_brev_b32 s0, -2
	v_mul_lo_u32 v3, v3, s0
	v_sub_u32_e32 v2, v2, v3
	v_max_u32_e32 v5, 1, v2
	s_movk_i32 s3, 0x2710
	v_mov_b32_e32 v2, 0
	s_mov_b32 s4, 0xbc8f1391
	s_mov_b32 s5, 0xbc8f
	s_brev_b32 s8, 12
	s_mov_b32 s9, 0xf800000
	v_mov_b32_e32 v3, 0x260
.LBB29_144:                             ; =>This Inner Loop Header: Depth=1
	v_mul_hi_u32 v6, v5, s4
	v_lshrrev_b32_e32 v6, 15, v6
	v_mul_u32_u24_e32 v8, 0xadc8, v6
	v_sub_u32_e32 v5, v5, v8
	v_mul_u32_u24_e32 v6, 0xd47, v6
	v_mul_lo_u32 v5, v5, s5
	v_xor_b32_e32 v8, 0x7fffffff, v6
	v_sub_u32_e32 v9, 0, v6
	v_cmp_lt_u32_e32 vcc, v5, v6
	v_cndmask_b32_e32 v6, v9, v8, vcc
	v_add_u32_e32 v5, v6, v5
	v_mul_hi_u32 v8, v5, s4
	v_lshrrev_b32_e32 v8, 15, v8
	v_mul_u32_u24_e32 v9, 0xadc8, v8
	v_add_u32_e32 v6, -1, v5
	v_sub_u32_e32 v5, v5, v9
	v_mul_u32_u24_e32 v8, 0xd47, v8
	v_mul_lo_u32 v5, v5, s5
	v_xor_b32_e32 v9, 0x7fffffff, v8
	v_sub_u32_e32 v10, 0, v8
	v_cmp_lt_u32_e32 vcc, v5, v8
	v_cndmask_b32_e32 v8, v10, v9, vcc
	v_add_u32_e32 v5, v8, v5
	v_mul_hi_u32 v9, v5, s4
	v_add_u32_e32 v8, -1, v5
	v_lshrrev_b32_e32 v9, 15, v9
	v_cvt_f32_u32_e32 v8, v8
	v_mul_u32_u24_e32 v10, 0xadc8, v9
	v_cvt_f32_u32_e32 v6, v6
	v_sub_u32_e32 v5, v5, v10
	v_mul_u32_u24_e32 v9, 0xd47, v9
	v_mul_lo_u32 v5, v5, s5
	v_xor_b32_e32 v10, 0x7fffffff, v9
	v_sub_u32_e32 v11, 0, v9
	v_cmp_lt_u32_e32 vcc, v5, v9
	v_fma_f32 v8, v8, s8, 0
	v_cndmask_b32_e32 v9, v11, v10, vcc
	v_fma_f32 v6, v6, s8, 0
	v_mul_f32_e32 v8, v8, v8
	v_add_u32_e32 v5, v9, v5
	v_fmac_f32_e32 v8, v6, v6
	v_mul_hi_u32 v9, v5, s4
	v_mul_f32_e32 v10, 0x4f800000, v8
	v_lshrrev_b32_e32 v9, 15, v9
	v_cmp_gt_f32_e32 vcc, s9, v8
	v_cndmask_b32_e32 v8, v8, v10, vcc
	v_mul_u32_u24_e32 v10, 0xadc8, v9
	v_add_u32_e32 v6, -1, v5
	v_sqrt_f32_e32 v11, v8
	v_sub_u32_e32 v5, v5, v10
	v_mul_u32_u24_e32 v9, 0xd47, v9
	v_mul_lo_u32 v5, v5, s5
	v_xor_b32_e32 v10, 0x7fffffff, v9
	v_sub_u32_e32 v12, 0, v9
	v_cmp_lt_u32_e64 s[0:1], v5, v9
	v_cndmask_b32_e64 v9, v12, v10, s[0:1]
	v_add_u32_e32 v5, v9, v5
	v_add_u32_e32 v9, -1, v11
	v_add_u32_e32 v10, 1, v11
	v_add_u32_e32 v12, -1, v5
	v_fma_f32 v13, -v9, v11, v8
	v_fma_f32 v14, -v10, v11, v8
	v_cvt_f32_u32_e32 v12, v12
	v_cmp_ge_f32_e64 s[0:1], 0, v13
	v_cvt_f32_u32_e32 v6, v6
	v_cndmask_b32_e64 v9, v11, v9, s[0:1]
	v_cmp_lt_f32_e64 s[0:1], 0, v14
	v_cndmask_b32_e64 v9, v9, v10, s[0:1]
	v_mul_f32_e32 v10, 0x37800000, v9
	v_cndmask_b32_e32 v9, v9, v10, vcc
	v_fma_f32 v10, v12, s8, 0
	v_cmp_class_f32_e32 vcc, v8, v3
	v_fma_f32 v6, v6, s8, 0
	v_cndmask_b32_e32 v8, v9, v8, vcc
	v_mul_f32_e32 v9, v10, v10
	v_add_f32_e32 v7, 1.0, v2
	v_cmp_nge_f32_e32 vcc, 1.0, v8
	v_fmac_f32_e32 v9, v6, v6
	v_cndmask_b32_e32 v2, v7, v2, vcc
	v_mul_f32_e32 v6, 0x4f800000, v9
	v_cmp_gt_f32_e32 vcc, s9, v9
	v_cndmask_b32_e32 v6, v9, v6, vcc
	v_sqrt_f32_e32 v8, v6
	s_add_i32 s3, s3, -2
	v_add_f32_e32 v7, 1.0, v2
	s_cmp_lg_u32 s3, 0
	v_add_u32_e32 v9, -1, v8
	v_add_u32_e32 v10, 1, v8
	v_fma_f32 v11, -v9, v8, v6
	v_fma_f32 v12, -v10, v8, v6
	v_cmp_ge_f32_e64 s[0:1], 0, v11
	v_cndmask_b32_e64 v8, v8, v9, s[0:1]
	v_cmp_lt_f32_e64 s[0:1], 0, v12
	v_cndmask_b32_e64 v8, v8, v10, s[0:1]
	v_mul_f32_e32 v9, 0x37800000, v8
	v_cndmask_b32_e32 v8, v8, v9, vcc
	v_cmp_class_f32_e32 vcc, v6, v3
	v_cndmask_b32_e32 v6, v8, v6, vcc
	v_cmp_nge_f32_e32 vcc, 1.0, v6
	v_cndmask_b32_e32 v2, v7, v2, vcc
	s_cbranch_scc1 .LBB29_144
; %bb.145:
	v_add_u32_e32 v3, 0x7ee55e16, v4
	v_lshrrev_b32_e32 v5, 19, v3
	v_xor_b32_e32 v3, v3, v5
	v_xor_b32_e32 v3, 0xc761c23c, v3
	v_lshl_add_u32 v3, v3, 5, v3
	v_mov_b32_e32 v6, 0xaccf6200
	v_add_u32_e32 v5, 0xe9f8cc1d, v3
	v_lshl_add_u32 v3, v3, 9, v6
	v_xor_b32_e32 v3, v5, v3
	v_lshlrev_b32_e32 v5, 3, v3
	s_mov_b32 s0, 0xfd7046c5
	v_add3_u32 v3, v3, v5, s0
	v_xor_b32_sdwa v3, v3, v3 dst_sel:DWORD dst_unused:UNUSED_PAD src0_sel:DWORD src1_sel:WORD_1
	v_xor_b32_e32 v3, 0xb55a4f09, v3
	v_mul_hi_u32 v5, v3, 3
	v_sub_u32_e32 v6, v3, v5
	v_lshrrev_b32_e32 v6, 1, v6
	v_add_u32_e32 v5, v6, v5
	v_lshrrev_b32_e32 v5, 30, v5
	s_brev_b32 s0, -2
	v_mul_lo_u32 v5, v5, s0
	v_sub_u32_e32 v3, v3, v5
	v_max_u32_e32 v6, 1, v3
	s_movk_i32 s3, 0x2710
	v_mov_b32_e32 v3, 0
	s_mov_b32 s4, 0xbc8f1391
	s_mov_b32 s5, 0xbc8f
	s_brev_b32 s8, 12
	s_mov_b32 s9, 0xf800000
	v_mov_b32_e32 v5, 0x260
.LBB29_146:                             ; =>This Inner Loop Header: Depth=1
	v_mul_hi_u32 v7, v6, s4
	v_lshrrev_b32_e32 v7, 15, v7
	v_mul_u32_u24_e32 v9, 0xadc8, v7
	v_sub_u32_e32 v6, v6, v9
	v_mul_u32_u24_e32 v7, 0xd47, v7
	v_mul_lo_u32 v6, v6, s5
	v_xor_b32_e32 v9, 0x7fffffff, v7
	v_sub_u32_e32 v10, 0, v7
	v_cmp_lt_u32_e32 vcc, v6, v7
	v_cndmask_b32_e32 v7, v10, v9, vcc
	v_add_u32_e32 v6, v7, v6
	v_mul_hi_u32 v9, v6, s4
	v_lshrrev_b32_e32 v9, 15, v9
	v_mul_u32_u24_e32 v10, 0xadc8, v9
	v_add_u32_e32 v7, -1, v6
	v_sub_u32_e32 v6, v6, v10
	v_mul_u32_u24_e32 v9, 0xd47, v9
	v_mul_lo_u32 v6, v6, s5
	v_xor_b32_e32 v10, 0x7fffffff, v9
	v_sub_u32_e32 v11, 0, v9
	v_cmp_lt_u32_e32 vcc, v6, v9
	v_cndmask_b32_e32 v9, v11, v10, vcc
	v_add_u32_e32 v6, v9, v6
	v_mul_hi_u32 v10, v6, s4
	v_add_u32_e32 v9, -1, v6
	v_lshrrev_b32_e32 v10, 15, v10
	v_cvt_f32_u32_e32 v9, v9
	v_mul_u32_u24_e32 v11, 0xadc8, v10
	v_cvt_f32_u32_e32 v7, v7
	v_sub_u32_e32 v6, v6, v11
	v_mul_u32_u24_e32 v10, 0xd47, v10
	v_mul_lo_u32 v6, v6, s5
	v_xor_b32_e32 v11, 0x7fffffff, v10
	v_sub_u32_e32 v12, 0, v10
	v_cmp_lt_u32_e32 vcc, v6, v10
	v_fma_f32 v9, v9, s8, 0
	v_cndmask_b32_e32 v10, v12, v11, vcc
	v_fma_f32 v7, v7, s8, 0
	v_mul_f32_e32 v9, v9, v9
	v_add_u32_e32 v6, v10, v6
	v_fmac_f32_e32 v9, v7, v7
	v_mul_hi_u32 v10, v6, s4
	v_mul_f32_e32 v11, 0x4f800000, v9
	v_lshrrev_b32_e32 v10, 15, v10
	v_cmp_gt_f32_e32 vcc, s9, v9
	v_cndmask_b32_e32 v9, v9, v11, vcc
	v_mul_u32_u24_e32 v11, 0xadc8, v10
	v_add_u32_e32 v7, -1, v6
	v_sqrt_f32_e32 v12, v9
	v_sub_u32_e32 v6, v6, v11
	v_mul_u32_u24_e32 v10, 0xd47, v10
	v_mul_lo_u32 v6, v6, s5
	v_xor_b32_e32 v11, 0x7fffffff, v10
	v_sub_u32_e32 v13, 0, v10
	v_cmp_lt_u32_e64 s[0:1], v6, v10
	v_cndmask_b32_e64 v10, v13, v11, s[0:1]
	v_add_u32_e32 v6, v10, v6
	v_add_u32_e32 v10, -1, v12
	v_add_u32_e32 v11, 1, v12
	v_add_u32_e32 v13, -1, v6
	v_fma_f32 v14, -v10, v12, v9
	v_fma_f32 v15, -v11, v12, v9
	v_cvt_f32_u32_e32 v13, v13
	v_cmp_ge_f32_e64 s[0:1], 0, v14
	v_cvt_f32_u32_e32 v7, v7
	v_cndmask_b32_e64 v10, v12, v10, s[0:1]
	v_cmp_lt_f32_e64 s[0:1], 0, v15
	v_cndmask_b32_e64 v10, v10, v11, s[0:1]
	v_mul_f32_e32 v11, 0x37800000, v10
	v_cndmask_b32_e32 v10, v10, v11, vcc
	v_fma_f32 v11, v13, s8, 0
	v_cmp_class_f32_e32 vcc, v9, v5
	v_fma_f32 v7, v7, s8, 0
	v_cndmask_b32_e32 v9, v10, v9, vcc
	v_mul_f32_e32 v10, v11, v11
	v_add_f32_e32 v8, 1.0, v3
	v_cmp_nge_f32_e32 vcc, 1.0, v9
	v_fmac_f32_e32 v10, v7, v7
	v_cndmask_b32_e32 v3, v8, v3, vcc
	v_mul_f32_e32 v7, 0x4f800000, v10
	v_cmp_gt_f32_e32 vcc, s9, v10
	v_cndmask_b32_e32 v7, v10, v7, vcc
	v_sqrt_f32_e32 v9, v7
	s_add_i32 s3, s3, -2
	v_add_f32_e32 v8, 1.0, v3
	s_cmp_lg_u32 s3, 0
	v_add_u32_e32 v10, -1, v9
	v_add_u32_e32 v11, 1, v9
	v_fma_f32 v12, -v10, v9, v7
	v_fma_f32 v13, -v11, v9, v7
	v_cmp_ge_f32_e64 s[0:1], 0, v12
	v_cndmask_b32_e64 v9, v9, v10, s[0:1]
	v_cmp_lt_f32_e64 s[0:1], 0, v13
	v_cndmask_b32_e64 v9, v9, v11, s[0:1]
	v_mul_f32_e32 v10, 0x37800000, v9
	v_cndmask_b32_e32 v9, v9, v10, vcc
	v_cmp_class_f32_e32 vcc, v7, v5
	v_cndmask_b32_e32 v7, v9, v7, vcc
	v_cmp_nge_f32_e32 vcc, 1.0, v7
	v_cndmask_b32_e32 v3, v8, v3, vcc
	s_cbranch_scc1 .LBB29_146
; %bb.147:
	v_add_u32_e32 v5, 0x7eed5e96, v4
	v_lshrrev_b32_e32 v6, 19, v5
	v_xor_b32_e32 v5, v5, v6
	v_xor_b32_e32 v5, 0xc761c23c, v5
	v_lshl_add_u32 v5, v5, 5, v5
	v_mov_b32_e32 v7, 0xaccf6200
	v_add_u32_e32 v6, 0xe9f8cc1d, v5
	v_lshl_add_u32 v5, v5, 9, v7
	v_xor_b32_e32 v5, v6, v5
	v_lshlrev_b32_e32 v6, 3, v5
	s_mov_b32 s0, 0xfd7046c5
	v_add3_u32 v5, v5, v6, s0
	v_xor_b32_sdwa v5, v5, v5 dst_sel:DWORD dst_unused:UNUSED_PAD src0_sel:DWORD src1_sel:WORD_1
	v_xor_b32_e32 v5, 0xb55a4f09, v5
	v_mul_hi_u32 v6, v5, 3
	v_sub_u32_e32 v7, v5, v6
	v_lshrrev_b32_e32 v7, 1, v7
	v_add_u32_e32 v6, v7, v6
	v_lshrrev_b32_e32 v6, 30, v6
	s_brev_b32 s0, -2
	v_mul_lo_u32 v6, v6, s0
	v_sub_u32_e32 v5, v5, v6
	v_max_u32_e32 v7, 1, v5
	s_movk_i32 s3, 0x2710
	v_mov_b32_e32 v5, 0
	s_mov_b32 s4, 0xbc8f1391
	s_mov_b32 s5, 0xbc8f
	s_brev_b32 s8, 12
	s_mov_b32 s9, 0xf800000
	v_mov_b32_e32 v6, 0x260
.LBB29_148:                             ; =>This Inner Loop Header: Depth=1
	v_mul_hi_u32 v8, v7, s4
	v_lshrrev_b32_e32 v8, 15, v8
	v_mul_u32_u24_e32 v10, 0xadc8, v8
	v_sub_u32_e32 v7, v7, v10
	v_mul_u32_u24_e32 v8, 0xd47, v8
	v_mul_lo_u32 v7, v7, s5
	v_xor_b32_e32 v10, 0x7fffffff, v8
	v_sub_u32_e32 v11, 0, v8
	v_cmp_lt_u32_e32 vcc, v7, v8
	v_cndmask_b32_e32 v8, v11, v10, vcc
	v_add_u32_e32 v7, v8, v7
	v_mul_hi_u32 v10, v7, s4
	v_lshrrev_b32_e32 v10, 15, v10
	v_mul_u32_u24_e32 v11, 0xadc8, v10
	v_add_u32_e32 v8, -1, v7
	v_sub_u32_e32 v7, v7, v11
	v_mul_u32_u24_e32 v10, 0xd47, v10
	v_mul_lo_u32 v7, v7, s5
	v_xor_b32_e32 v11, 0x7fffffff, v10
	v_sub_u32_e32 v12, 0, v10
	v_cmp_lt_u32_e32 vcc, v7, v10
	v_cndmask_b32_e32 v10, v12, v11, vcc
	v_add_u32_e32 v7, v10, v7
	v_mul_hi_u32 v11, v7, s4
	v_add_u32_e32 v10, -1, v7
	v_lshrrev_b32_e32 v11, 15, v11
	v_cvt_f32_u32_e32 v10, v10
	v_mul_u32_u24_e32 v12, 0xadc8, v11
	v_cvt_f32_u32_e32 v8, v8
	v_sub_u32_e32 v7, v7, v12
	v_mul_u32_u24_e32 v11, 0xd47, v11
	v_mul_lo_u32 v7, v7, s5
	v_xor_b32_e32 v12, 0x7fffffff, v11
	v_sub_u32_e32 v13, 0, v11
	v_cmp_lt_u32_e32 vcc, v7, v11
	v_fma_f32 v10, v10, s8, 0
	v_cndmask_b32_e32 v11, v13, v12, vcc
	v_fma_f32 v8, v8, s8, 0
	v_mul_f32_e32 v10, v10, v10
	v_add_u32_e32 v7, v11, v7
	v_fmac_f32_e32 v10, v8, v8
	v_mul_hi_u32 v11, v7, s4
	v_mul_f32_e32 v12, 0x4f800000, v10
	v_lshrrev_b32_e32 v11, 15, v11
	v_cmp_gt_f32_e32 vcc, s9, v10
	v_cndmask_b32_e32 v10, v10, v12, vcc
	v_mul_u32_u24_e32 v12, 0xadc8, v11
	v_add_u32_e32 v8, -1, v7
	v_sqrt_f32_e32 v13, v10
	v_sub_u32_e32 v7, v7, v12
	v_mul_u32_u24_e32 v11, 0xd47, v11
	v_mul_lo_u32 v7, v7, s5
	v_xor_b32_e32 v12, 0x7fffffff, v11
	v_sub_u32_e32 v14, 0, v11
	v_cmp_lt_u32_e64 s[0:1], v7, v11
	v_cndmask_b32_e64 v11, v14, v12, s[0:1]
	v_add_u32_e32 v7, v11, v7
	v_add_u32_e32 v11, -1, v13
	v_add_u32_e32 v12, 1, v13
	v_add_u32_e32 v14, -1, v7
	v_fma_f32 v15, -v11, v13, v10
	v_fma_f32 v16, -v12, v13, v10
	v_cvt_f32_u32_e32 v14, v14
	v_cmp_ge_f32_e64 s[0:1], 0, v15
	v_cvt_f32_u32_e32 v8, v8
	v_cndmask_b32_e64 v11, v13, v11, s[0:1]
	v_cmp_lt_f32_e64 s[0:1], 0, v16
	v_cndmask_b32_e64 v11, v11, v12, s[0:1]
	v_mul_f32_e32 v12, 0x37800000, v11
	v_cndmask_b32_e32 v11, v11, v12, vcc
	v_fma_f32 v12, v14, s8, 0
	v_cmp_class_f32_e32 vcc, v10, v6
	v_fma_f32 v8, v8, s8, 0
	v_cndmask_b32_e32 v10, v11, v10, vcc
	v_mul_f32_e32 v11, v12, v12
	v_add_f32_e32 v9, 1.0, v5
	v_cmp_nge_f32_e32 vcc, 1.0, v10
	v_fmac_f32_e32 v11, v8, v8
	v_cndmask_b32_e32 v5, v9, v5, vcc
	v_mul_f32_e32 v8, 0x4f800000, v11
	v_cmp_gt_f32_e32 vcc, s9, v11
	v_cndmask_b32_e32 v8, v11, v8, vcc
	v_sqrt_f32_e32 v10, v8
	s_add_i32 s3, s3, -2
	v_add_f32_e32 v9, 1.0, v5
	s_cmp_lg_u32 s3, 0
	v_add_u32_e32 v11, -1, v10
	v_add_u32_e32 v12, 1, v10
	v_fma_f32 v13, -v11, v10, v8
	v_fma_f32 v14, -v12, v10, v8
	v_cmp_ge_f32_e64 s[0:1], 0, v13
	v_cndmask_b32_e64 v10, v10, v11, s[0:1]
	v_cmp_lt_f32_e64 s[0:1], 0, v14
	v_cndmask_b32_e64 v10, v10, v12, s[0:1]
	v_mul_f32_e32 v11, 0x37800000, v10
	v_cndmask_b32_e32 v10, v10, v11, vcc
	v_cmp_class_f32_e32 vcc, v8, v6
	v_cndmask_b32_e32 v8, v10, v8, vcc
	v_cmp_nge_f32_e32 vcc, 1.0, v8
	v_cndmask_b32_e32 v5, v9, v5, vcc
	s_cbranch_scc1 .LBB29_148
; %bb.149:
	v_add_u32_e32 v6, 0x7ef55f16, v4
	v_lshrrev_b32_e32 v7, 19, v6
	v_xor_b32_e32 v6, v6, v7
	v_xor_b32_e32 v6, 0xc761c23c, v6
	v_lshl_add_u32 v6, v6, 5, v6
	v_mov_b32_e32 v8, 0xaccf6200
	v_add_u32_e32 v7, 0xe9f8cc1d, v6
	v_lshl_add_u32 v6, v6, 9, v8
	v_xor_b32_e32 v6, v7, v6
	v_lshlrev_b32_e32 v7, 3, v6
	s_mov_b32 s0, 0xfd7046c5
	v_add3_u32 v6, v6, v7, s0
	v_xor_b32_sdwa v6, v6, v6 dst_sel:DWORD dst_unused:UNUSED_PAD src0_sel:DWORD src1_sel:WORD_1
	v_xor_b32_e32 v6, 0xb55a4f09, v6
	v_mul_hi_u32 v7, v6, 3
	v_sub_u32_e32 v8, v6, v7
	v_lshrrev_b32_e32 v8, 1, v8
	v_add_u32_e32 v7, v8, v7
	v_lshrrev_b32_e32 v7, 30, v7
	s_brev_b32 s0, -2
	v_mul_lo_u32 v7, v7, s0
	v_sub_u32_e32 v6, v6, v7
	v_max_u32_e32 v8, 1, v6
	s_movk_i32 s3, 0x2710
	v_mov_b32_e32 v6, 0
	s_mov_b32 s4, 0xbc8f1391
	s_mov_b32 s5, 0xbc8f
	s_brev_b32 s8, 12
	s_mov_b32 s9, 0xf800000
	v_mov_b32_e32 v7, 0x260
.LBB29_150:                             ; =>This Inner Loop Header: Depth=1
	v_mul_hi_u32 v9, v8, s4
	v_lshrrev_b32_e32 v9, 15, v9
	v_mul_u32_u24_e32 v11, 0xadc8, v9
	v_sub_u32_e32 v8, v8, v11
	v_mul_u32_u24_e32 v9, 0xd47, v9
	v_mul_lo_u32 v8, v8, s5
	v_xor_b32_e32 v11, 0x7fffffff, v9
	v_sub_u32_e32 v12, 0, v9
	v_cmp_lt_u32_e32 vcc, v8, v9
	v_cndmask_b32_e32 v9, v12, v11, vcc
	v_add_u32_e32 v8, v9, v8
	v_mul_hi_u32 v11, v8, s4
	v_lshrrev_b32_e32 v11, 15, v11
	v_mul_u32_u24_e32 v12, 0xadc8, v11
	v_add_u32_e32 v9, -1, v8
	v_sub_u32_e32 v8, v8, v12
	v_mul_u32_u24_e32 v11, 0xd47, v11
	v_mul_lo_u32 v8, v8, s5
	v_xor_b32_e32 v12, 0x7fffffff, v11
	v_sub_u32_e32 v13, 0, v11
	v_cmp_lt_u32_e32 vcc, v8, v11
	v_cndmask_b32_e32 v11, v13, v12, vcc
	v_add_u32_e32 v8, v11, v8
	v_mul_hi_u32 v12, v8, s4
	v_add_u32_e32 v11, -1, v8
	v_lshrrev_b32_e32 v12, 15, v12
	v_cvt_f32_u32_e32 v11, v11
	v_mul_u32_u24_e32 v13, 0xadc8, v12
	v_cvt_f32_u32_e32 v9, v9
	v_sub_u32_e32 v8, v8, v13
	v_mul_u32_u24_e32 v12, 0xd47, v12
	v_mul_lo_u32 v8, v8, s5
	v_xor_b32_e32 v13, 0x7fffffff, v12
	v_sub_u32_e32 v14, 0, v12
	v_cmp_lt_u32_e32 vcc, v8, v12
	v_fma_f32 v11, v11, s8, 0
	v_cndmask_b32_e32 v12, v14, v13, vcc
	v_fma_f32 v9, v9, s8, 0
	v_mul_f32_e32 v11, v11, v11
	v_add_u32_e32 v8, v12, v8
	v_fmac_f32_e32 v11, v9, v9
	v_mul_hi_u32 v12, v8, s4
	v_mul_f32_e32 v13, 0x4f800000, v11
	v_lshrrev_b32_e32 v12, 15, v12
	v_cmp_gt_f32_e32 vcc, s9, v11
	v_cndmask_b32_e32 v11, v11, v13, vcc
	v_mul_u32_u24_e32 v13, 0xadc8, v12
	v_add_u32_e32 v9, -1, v8
	v_sqrt_f32_e32 v14, v11
	v_sub_u32_e32 v8, v8, v13
	v_mul_u32_u24_e32 v12, 0xd47, v12
	v_mul_lo_u32 v8, v8, s5
	v_xor_b32_e32 v13, 0x7fffffff, v12
	v_sub_u32_e32 v15, 0, v12
	v_cmp_lt_u32_e64 s[0:1], v8, v12
	v_cndmask_b32_e64 v12, v15, v13, s[0:1]
	v_add_u32_e32 v8, v12, v8
	v_add_u32_e32 v12, -1, v14
	v_add_u32_e32 v13, 1, v14
	v_add_u32_e32 v15, -1, v8
	v_fma_f32 v16, -v12, v14, v11
	v_fma_f32 v17, -v13, v14, v11
	v_cvt_f32_u32_e32 v15, v15
	v_cmp_ge_f32_e64 s[0:1], 0, v16
	v_cvt_f32_u32_e32 v9, v9
	v_cndmask_b32_e64 v12, v14, v12, s[0:1]
	v_cmp_lt_f32_e64 s[0:1], 0, v17
	v_cndmask_b32_e64 v12, v12, v13, s[0:1]
	v_mul_f32_e32 v13, 0x37800000, v12
	v_cndmask_b32_e32 v12, v12, v13, vcc
	v_fma_f32 v13, v15, s8, 0
	v_cmp_class_f32_e32 vcc, v11, v7
	v_fma_f32 v9, v9, s8, 0
	v_cndmask_b32_e32 v11, v12, v11, vcc
	v_mul_f32_e32 v12, v13, v13
	v_add_f32_e32 v10, 1.0, v6
	v_cmp_nge_f32_e32 vcc, 1.0, v11
	v_fmac_f32_e32 v12, v9, v9
	v_cndmask_b32_e32 v6, v10, v6, vcc
	v_mul_f32_e32 v9, 0x4f800000, v12
	v_cmp_gt_f32_e32 vcc, s9, v12
	v_cndmask_b32_e32 v9, v12, v9, vcc
	v_sqrt_f32_e32 v11, v9
	s_add_i32 s3, s3, -2
	v_add_f32_e32 v10, 1.0, v6
	s_cmp_lg_u32 s3, 0
	v_add_u32_e32 v12, -1, v11
	v_add_u32_e32 v13, 1, v11
	v_fma_f32 v14, -v12, v11, v9
	v_fma_f32 v15, -v13, v11, v9
	v_cmp_ge_f32_e64 s[0:1], 0, v14
	v_cndmask_b32_e64 v11, v11, v12, s[0:1]
	v_cmp_lt_f32_e64 s[0:1], 0, v15
	v_cndmask_b32_e64 v11, v11, v13, s[0:1]
	v_mul_f32_e32 v12, 0x37800000, v11
	v_cndmask_b32_e32 v11, v11, v12, vcc
	v_cmp_class_f32_e32 vcc, v9, v7
	v_cndmask_b32_e32 v9, v11, v9, vcc
	v_cmp_nge_f32_e32 vcc, 1.0, v9
	v_cndmask_b32_e32 v6, v10, v6, vcc
	s_cbranch_scc1 .LBB29_150
; %bb.151:
	v_add_u32_e32 v7, 0x7efd5f96, v4
	v_lshrrev_b32_e32 v8, 19, v7
	v_xor_b32_e32 v7, v7, v8
	v_xor_b32_e32 v7, 0xc761c23c, v7
	v_lshl_add_u32 v7, v7, 5, v7
	v_mov_b32_e32 v9, 0xaccf6200
	v_add_u32_e32 v8, 0xe9f8cc1d, v7
	v_lshl_add_u32 v7, v7, 9, v9
	v_xor_b32_e32 v7, v8, v7
	v_lshlrev_b32_e32 v8, 3, v7
	s_mov_b32 s0, 0xfd7046c5
	v_add3_u32 v7, v7, v8, s0
	v_xor_b32_sdwa v7, v7, v7 dst_sel:DWORD dst_unused:UNUSED_PAD src0_sel:DWORD src1_sel:WORD_1
	v_xor_b32_e32 v7, 0xb55a4f09, v7
	v_mul_hi_u32 v8, v7, 3
	v_sub_u32_e32 v9, v7, v8
	v_lshrrev_b32_e32 v9, 1, v9
	v_add_u32_e32 v8, v9, v8
	v_lshrrev_b32_e32 v8, 30, v8
	s_brev_b32 s0, -2
	v_mul_lo_u32 v8, v8, s0
	v_sub_u32_e32 v7, v7, v8
	v_max_u32_e32 v9, 1, v7
	s_movk_i32 s3, 0x2710
	v_mov_b32_e32 v7, 0
	s_mov_b32 s4, 0xbc8f1391
	s_mov_b32 s5, 0xbc8f
	s_brev_b32 s8, 12
	s_mov_b32 s9, 0xf800000
	v_mov_b32_e32 v8, 0x260
.LBB29_152:                             ; =>This Inner Loop Header: Depth=1
	v_mul_hi_u32 v10, v9, s4
	v_lshrrev_b32_e32 v10, 15, v10
	v_mul_u32_u24_e32 v12, 0xadc8, v10
	v_sub_u32_e32 v9, v9, v12
	v_mul_u32_u24_e32 v10, 0xd47, v10
	v_mul_lo_u32 v9, v9, s5
	v_xor_b32_e32 v12, 0x7fffffff, v10
	v_sub_u32_e32 v13, 0, v10
	v_cmp_lt_u32_e32 vcc, v9, v10
	v_cndmask_b32_e32 v10, v13, v12, vcc
	v_add_u32_e32 v9, v10, v9
	v_mul_hi_u32 v12, v9, s4
	v_lshrrev_b32_e32 v12, 15, v12
	v_mul_u32_u24_e32 v13, 0xadc8, v12
	v_add_u32_e32 v10, -1, v9
	v_sub_u32_e32 v9, v9, v13
	v_mul_u32_u24_e32 v12, 0xd47, v12
	v_mul_lo_u32 v9, v9, s5
	v_xor_b32_e32 v13, 0x7fffffff, v12
	v_sub_u32_e32 v14, 0, v12
	v_cmp_lt_u32_e32 vcc, v9, v12
	v_cndmask_b32_e32 v12, v14, v13, vcc
	v_add_u32_e32 v9, v12, v9
	v_mul_hi_u32 v13, v9, s4
	v_add_u32_e32 v12, -1, v9
	v_lshrrev_b32_e32 v13, 15, v13
	v_cvt_f32_u32_e32 v12, v12
	v_mul_u32_u24_e32 v14, 0xadc8, v13
	v_cvt_f32_u32_e32 v10, v10
	v_sub_u32_e32 v9, v9, v14
	v_mul_u32_u24_e32 v13, 0xd47, v13
	v_mul_lo_u32 v9, v9, s5
	v_xor_b32_e32 v14, 0x7fffffff, v13
	v_sub_u32_e32 v15, 0, v13
	v_cmp_lt_u32_e32 vcc, v9, v13
	v_fma_f32 v12, v12, s8, 0
	v_cndmask_b32_e32 v13, v15, v14, vcc
	v_fma_f32 v10, v10, s8, 0
	v_mul_f32_e32 v12, v12, v12
	v_add_u32_e32 v9, v13, v9
	v_fmac_f32_e32 v12, v10, v10
	v_mul_hi_u32 v13, v9, s4
	v_mul_f32_e32 v14, 0x4f800000, v12
	v_lshrrev_b32_e32 v13, 15, v13
	v_cmp_gt_f32_e32 vcc, s9, v12
	v_cndmask_b32_e32 v12, v12, v14, vcc
	v_mul_u32_u24_e32 v14, 0xadc8, v13
	v_add_u32_e32 v10, -1, v9
	v_sqrt_f32_e32 v15, v12
	v_sub_u32_e32 v9, v9, v14
	v_mul_u32_u24_e32 v13, 0xd47, v13
	v_mul_lo_u32 v9, v9, s5
	v_xor_b32_e32 v14, 0x7fffffff, v13
	v_sub_u32_e32 v16, 0, v13
	v_cmp_lt_u32_e64 s[0:1], v9, v13
	v_cndmask_b32_e64 v13, v16, v14, s[0:1]
	v_add_u32_e32 v9, v13, v9
	v_add_u32_e32 v13, -1, v15
	v_add_u32_e32 v14, 1, v15
	v_add_u32_e32 v16, -1, v9
	v_fma_f32 v17, -v13, v15, v12
	v_fma_f32 v18, -v14, v15, v12
	v_cvt_f32_u32_e32 v16, v16
	v_cmp_ge_f32_e64 s[0:1], 0, v17
	v_cvt_f32_u32_e32 v10, v10
	v_cndmask_b32_e64 v13, v15, v13, s[0:1]
	v_cmp_lt_f32_e64 s[0:1], 0, v18
	v_cndmask_b32_e64 v13, v13, v14, s[0:1]
	v_mul_f32_e32 v14, 0x37800000, v13
	v_cndmask_b32_e32 v13, v13, v14, vcc
	v_fma_f32 v14, v16, s8, 0
	v_cmp_class_f32_e32 vcc, v12, v8
	v_fma_f32 v10, v10, s8, 0
	v_cndmask_b32_e32 v12, v13, v12, vcc
	v_mul_f32_e32 v13, v14, v14
	v_add_f32_e32 v11, 1.0, v7
	v_cmp_nge_f32_e32 vcc, 1.0, v12
	v_fmac_f32_e32 v13, v10, v10
	v_cndmask_b32_e32 v7, v11, v7, vcc
	v_mul_f32_e32 v10, 0x4f800000, v13
	v_cmp_gt_f32_e32 vcc, s9, v13
	v_cndmask_b32_e32 v10, v13, v10, vcc
	v_sqrt_f32_e32 v12, v10
	s_add_i32 s3, s3, -2
	v_add_f32_e32 v11, 1.0, v7
	s_cmp_lg_u32 s3, 0
	v_add_u32_e32 v13, -1, v12
	v_add_u32_e32 v14, 1, v12
	v_fma_f32 v15, -v13, v12, v10
	v_fma_f32 v16, -v14, v12, v10
	v_cmp_ge_f32_e64 s[0:1], 0, v15
	v_cndmask_b32_e64 v12, v12, v13, s[0:1]
	v_cmp_lt_f32_e64 s[0:1], 0, v16
	v_cndmask_b32_e64 v12, v12, v14, s[0:1]
	v_mul_f32_e32 v13, 0x37800000, v12
	v_cndmask_b32_e32 v12, v12, v13, vcc
	v_cmp_class_f32_e32 vcc, v10, v8
	v_cndmask_b32_e32 v10, v12, v10, vcc
	v_cmp_nge_f32_e32 vcc, 1.0, v10
	v_cndmask_b32_e32 v7, v11, v7, vcc
	s_cbranch_scc1 .LBB29_152
; %bb.153:
	v_add_u32_e32 v8, 0x7f056016, v4
	v_lshrrev_b32_e32 v9, 19, v8
	v_xor_b32_e32 v8, v8, v9
	v_xor_b32_e32 v8, 0xc761c23c, v8
	v_lshl_add_u32 v8, v8, 5, v8
	v_mov_b32_e32 v10, 0xaccf6200
	v_add_u32_e32 v9, 0xe9f8cc1d, v8
	v_lshl_add_u32 v8, v8, 9, v10
	v_xor_b32_e32 v8, v9, v8
	v_lshlrev_b32_e32 v9, 3, v8
	s_mov_b32 s0, 0xfd7046c5
	v_add3_u32 v8, v8, v9, s0
	v_xor_b32_sdwa v8, v8, v8 dst_sel:DWORD dst_unused:UNUSED_PAD src0_sel:DWORD src1_sel:WORD_1
	v_xor_b32_e32 v8, 0xb55a4f09, v8
	v_mul_hi_u32 v9, v8, 3
	v_sub_u32_e32 v10, v8, v9
	v_lshrrev_b32_e32 v10, 1, v10
	v_add_u32_e32 v9, v10, v9
	v_lshrrev_b32_e32 v9, 30, v9
	s_brev_b32 s0, -2
	v_mul_lo_u32 v9, v9, s0
	v_sub_u32_e32 v8, v8, v9
	v_max_u32_e32 v10, 1, v8
	s_movk_i32 s3, 0x2710
	v_mov_b32_e32 v8, 0
	s_mov_b32 s4, 0xbc8f1391
	s_mov_b32 s5, 0xbc8f
	s_brev_b32 s8, 12
	s_mov_b32 s9, 0xf800000
	v_mov_b32_e32 v9, 0x260
.LBB29_154:                             ; =>This Inner Loop Header: Depth=1
	v_mul_hi_u32 v11, v10, s4
	v_lshrrev_b32_e32 v11, 15, v11
	v_mul_u32_u24_e32 v13, 0xadc8, v11
	v_sub_u32_e32 v10, v10, v13
	v_mul_u32_u24_e32 v11, 0xd47, v11
	v_mul_lo_u32 v10, v10, s5
	v_xor_b32_e32 v13, 0x7fffffff, v11
	v_sub_u32_e32 v14, 0, v11
	v_cmp_lt_u32_e32 vcc, v10, v11
	v_cndmask_b32_e32 v11, v14, v13, vcc
	v_add_u32_e32 v10, v11, v10
	v_mul_hi_u32 v13, v10, s4
	v_lshrrev_b32_e32 v13, 15, v13
	v_mul_u32_u24_e32 v14, 0xadc8, v13
	v_add_u32_e32 v11, -1, v10
	v_sub_u32_e32 v10, v10, v14
	v_mul_u32_u24_e32 v13, 0xd47, v13
	v_mul_lo_u32 v10, v10, s5
	v_xor_b32_e32 v14, 0x7fffffff, v13
	v_sub_u32_e32 v15, 0, v13
	v_cmp_lt_u32_e32 vcc, v10, v13
	v_cndmask_b32_e32 v13, v15, v14, vcc
	v_add_u32_e32 v10, v13, v10
	v_mul_hi_u32 v14, v10, s4
	v_add_u32_e32 v13, -1, v10
	v_lshrrev_b32_e32 v14, 15, v14
	v_cvt_f32_u32_e32 v13, v13
	v_mul_u32_u24_e32 v15, 0xadc8, v14
	v_cvt_f32_u32_e32 v11, v11
	v_sub_u32_e32 v10, v10, v15
	v_mul_u32_u24_e32 v14, 0xd47, v14
	v_mul_lo_u32 v10, v10, s5
	v_xor_b32_e32 v15, 0x7fffffff, v14
	v_sub_u32_e32 v16, 0, v14
	v_cmp_lt_u32_e32 vcc, v10, v14
	v_fma_f32 v13, v13, s8, 0
	v_cndmask_b32_e32 v14, v16, v15, vcc
	v_fma_f32 v11, v11, s8, 0
	v_mul_f32_e32 v13, v13, v13
	v_add_u32_e32 v10, v14, v10
	v_fmac_f32_e32 v13, v11, v11
	v_mul_hi_u32 v14, v10, s4
	v_mul_f32_e32 v15, 0x4f800000, v13
	v_lshrrev_b32_e32 v14, 15, v14
	v_cmp_gt_f32_e32 vcc, s9, v13
	v_cndmask_b32_e32 v13, v13, v15, vcc
	v_mul_u32_u24_e32 v15, 0xadc8, v14
	v_add_u32_e32 v11, -1, v10
	v_sqrt_f32_e32 v16, v13
	v_sub_u32_e32 v10, v10, v15
	v_mul_u32_u24_e32 v14, 0xd47, v14
	v_mul_lo_u32 v10, v10, s5
	v_xor_b32_e32 v15, 0x7fffffff, v14
	v_sub_u32_e32 v17, 0, v14
	v_cmp_lt_u32_e64 s[0:1], v10, v14
	v_cndmask_b32_e64 v14, v17, v15, s[0:1]
	v_add_u32_e32 v10, v14, v10
	v_add_u32_e32 v14, -1, v16
	v_add_u32_e32 v15, 1, v16
	v_add_u32_e32 v17, -1, v10
	v_fma_f32 v18, -v14, v16, v13
	v_fma_f32 v19, -v15, v16, v13
	v_cvt_f32_u32_e32 v17, v17
	v_cmp_ge_f32_e64 s[0:1], 0, v18
	v_cvt_f32_u32_e32 v11, v11
	v_cndmask_b32_e64 v14, v16, v14, s[0:1]
	v_cmp_lt_f32_e64 s[0:1], 0, v19
	v_cndmask_b32_e64 v14, v14, v15, s[0:1]
	v_mul_f32_e32 v15, 0x37800000, v14
	v_cndmask_b32_e32 v14, v14, v15, vcc
	v_fma_f32 v15, v17, s8, 0
	v_cmp_class_f32_e32 vcc, v13, v9
	v_fma_f32 v11, v11, s8, 0
	v_cndmask_b32_e32 v13, v14, v13, vcc
	v_mul_f32_e32 v14, v15, v15
	v_add_f32_e32 v12, 1.0, v8
	v_cmp_nge_f32_e32 vcc, 1.0, v13
	v_fmac_f32_e32 v14, v11, v11
	v_cndmask_b32_e32 v8, v12, v8, vcc
	v_mul_f32_e32 v11, 0x4f800000, v14
	v_cmp_gt_f32_e32 vcc, s9, v14
	v_cndmask_b32_e32 v11, v14, v11, vcc
	v_sqrt_f32_e32 v13, v11
	s_add_i32 s3, s3, -2
	v_add_f32_e32 v12, 1.0, v8
	s_cmp_lg_u32 s3, 0
	v_add_u32_e32 v14, -1, v13
	v_add_u32_e32 v15, 1, v13
	v_fma_f32 v16, -v14, v13, v11
	v_fma_f32 v17, -v15, v13, v11
	v_cmp_ge_f32_e64 s[0:1], 0, v16
	v_cndmask_b32_e64 v13, v13, v14, s[0:1]
	v_cmp_lt_f32_e64 s[0:1], 0, v17
	v_cndmask_b32_e64 v13, v13, v15, s[0:1]
	v_mul_f32_e32 v14, 0x37800000, v13
	v_cndmask_b32_e32 v13, v13, v14, vcc
	v_cmp_class_f32_e32 vcc, v11, v9
	v_cndmask_b32_e32 v11, v13, v11, vcc
	v_cmp_nge_f32_e32 vcc, 1.0, v11
	v_cndmask_b32_e32 v8, v12, v8, vcc
	s_cbranch_scc1 .LBB29_154
; %bb.155:
	v_add_u32_e32 v9, 0x7f0d6096, v4
	v_lshrrev_b32_e32 v10, 19, v9
	v_xor_b32_e32 v9, v9, v10
	v_xor_b32_e32 v9, 0xc761c23c, v9
	v_lshl_add_u32 v9, v9, 5, v9
	v_mov_b32_e32 v11, 0xaccf6200
	v_add_u32_e32 v10, 0xe9f8cc1d, v9
	v_lshl_add_u32 v9, v9, 9, v11
	v_xor_b32_e32 v9, v10, v9
	v_lshlrev_b32_e32 v10, 3, v9
	s_mov_b32 s0, 0xfd7046c5
	v_add3_u32 v9, v9, v10, s0
	v_xor_b32_sdwa v9, v9, v9 dst_sel:DWORD dst_unused:UNUSED_PAD src0_sel:DWORD src1_sel:WORD_1
	v_xor_b32_e32 v9, 0xb55a4f09, v9
	v_mul_hi_u32 v10, v9, 3
	v_sub_u32_e32 v11, v9, v10
	v_lshrrev_b32_e32 v11, 1, v11
	v_add_u32_e32 v10, v11, v10
	v_lshrrev_b32_e32 v10, 30, v10
	s_brev_b32 s0, -2
	v_mul_lo_u32 v10, v10, s0
	v_sub_u32_e32 v9, v9, v10
	v_max_u32_e32 v11, 1, v9
	s_movk_i32 s3, 0x2710
	v_mov_b32_e32 v9, 0
	s_mov_b32 s4, 0xbc8f1391
	s_mov_b32 s5, 0xbc8f
	s_brev_b32 s8, 12
	s_mov_b32 s9, 0xf800000
	v_mov_b32_e32 v10, 0x260
.LBB29_156:                             ; =>This Inner Loop Header: Depth=1
	v_mul_hi_u32 v12, v11, s4
	v_lshrrev_b32_e32 v12, 15, v12
	v_mul_u32_u24_e32 v14, 0xadc8, v12
	v_sub_u32_e32 v11, v11, v14
	v_mul_u32_u24_e32 v12, 0xd47, v12
	v_mul_lo_u32 v11, v11, s5
	v_xor_b32_e32 v14, 0x7fffffff, v12
	v_sub_u32_e32 v15, 0, v12
	v_cmp_lt_u32_e32 vcc, v11, v12
	v_cndmask_b32_e32 v12, v15, v14, vcc
	v_add_u32_e32 v11, v12, v11
	v_mul_hi_u32 v14, v11, s4
	v_lshrrev_b32_e32 v14, 15, v14
	v_mul_u32_u24_e32 v15, 0xadc8, v14
	v_add_u32_e32 v12, -1, v11
	v_sub_u32_e32 v11, v11, v15
	v_mul_u32_u24_e32 v14, 0xd47, v14
	v_mul_lo_u32 v11, v11, s5
	v_xor_b32_e32 v15, 0x7fffffff, v14
	v_sub_u32_e32 v16, 0, v14
	v_cmp_lt_u32_e32 vcc, v11, v14
	v_cndmask_b32_e32 v14, v16, v15, vcc
	v_add_u32_e32 v11, v14, v11
	v_mul_hi_u32 v15, v11, s4
	v_add_u32_e32 v14, -1, v11
	v_lshrrev_b32_e32 v15, 15, v15
	v_cvt_f32_u32_e32 v14, v14
	v_mul_u32_u24_e32 v16, 0xadc8, v15
	v_cvt_f32_u32_e32 v12, v12
	v_sub_u32_e32 v11, v11, v16
	v_mul_u32_u24_e32 v15, 0xd47, v15
	v_mul_lo_u32 v11, v11, s5
	v_xor_b32_e32 v16, 0x7fffffff, v15
	v_sub_u32_e32 v17, 0, v15
	v_cmp_lt_u32_e32 vcc, v11, v15
	v_fma_f32 v14, v14, s8, 0
	v_cndmask_b32_e32 v15, v17, v16, vcc
	v_fma_f32 v12, v12, s8, 0
	v_mul_f32_e32 v14, v14, v14
	v_add_u32_e32 v11, v15, v11
	v_fmac_f32_e32 v14, v12, v12
	v_mul_hi_u32 v15, v11, s4
	v_mul_f32_e32 v16, 0x4f800000, v14
	v_lshrrev_b32_e32 v15, 15, v15
	v_cmp_gt_f32_e32 vcc, s9, v14
	v_cndmask_b32_e32 v14, v14, v16, vcc
	v_mul_u32_u24_e32 v16, 0xadc8, v15
	v_add_u32_e32 v12, -1, v11
	v_sqrt_f32_e32 v17, v14
	v_sub_u32_e32 v11, v11, v16
	v_mul_u32_u24_e32 v15, 0xd47, v15
	v_mul_lo_u32 v11, v11, s5
	v_xor_b32_e32 v16, 0x7fffffff, v15
	v_sub_u32_e32 v18, 0, v15
	v_cmp_lt_u32_e64 s[0:1], v11, v15
	v_cndmask_b32_e64 v15, v18, v16, s[0:1]
	v_add_u32_e32 v11, v15, v11
	v_add_u32_e32 v15, -1, v17
	v_add_u32_e32 v16, 1, v17
	v_add_u32_e32 v18, -1, v11
	v_fma_f32 v19, -v15, v17, v14
	v_fma_f32 v20, -v16, v17, v14
	v_cvt_f32_u32_e32 v18, v18
	v_cmp_ge_f32_e64 s[0:1], 0, v19
	v_cvt_f32_u32_e32 v12, v12
	v_cndmask_b32_e64 v15, v17, v15, s[0:1]
	v_cmp_lt_f32_e64 s[0:1], 0, v20
	v_cndmask_b32_e64 v15, v15, v16, s[0:1]
	v_mul_f32_e32 v16, 0x37800000, v15
	v_cndmask_b32_e32 v15, v15, v16, vcc
	v_fma_f32 v16, v18, s8, 0
	v_cmp_class_f32_e32 vcc, v14, v10
	v_fma_f32 v12, v12, s8, 0
	v_cndmask_b32_e32 v14, v15, v14, vcc
	v_mul_f32_e32 v15, v16, v16
	v_add_f32_e32 v13, 1.0, v9
	v_cmp_nge_f32_e32 vcc, 1.0, v14
	v_fmac_f32_e32 v15, v12, v12
	v_cndmask_b32_e32 v9, v13, v9, vcc
	v_mul_f32_e32 v12, 0x4f800000, v15
	v_cmp_gt_f32_e32 vcc, s9, v15
	v_cndmask_b32_e32 v12, v15, v12, vcc
	v_sqrt_f32_e32 v14, v12
	s_add_i32 s3, s3, -2
	v_add_f32_e32 v13, 1.0, v9
	s_cmp_lg_u32 s3, 0
	v_add_u32_e32 v15, -1, v14
	v_add_u32_e32 v16, 1, v14
	v_fma_f32 v17, -v15, v14, v12
	v_fma_f32 v18, -v16, v14, v12
	v_cmp_ge_f32_e64 s[0:1], 0, v17
	v_cndmask_b32_e64 v14, v14, v15, s[0:1]
	v_cmp_lt_f32_e64 s[0:1], 0, v18
	v_cndmask_b32_e64 v14, v14, v16, s[0:1]
	v_mul_f32_e32 v15, 0x37800000, v14
	v_cndmask_b32_e32 v14, v14, v15, vcc
	v_cmp_class_f32_e32 vcc, v12, v10
	v_cndmask_b32_e32 v12, v14, v12, vcc
	v_cmp_nge_f32_e32 vcc, 1.0, v12
	v_cndmask_b32_e32 v9, v13, v9, vcc
	s_cbranch_scc1 .LBB29_156
; %bb.157:
	v_add_u32_e32 v10, 0x7f156116, v4
	v_lshrrev_b32_e32 v11, 19, v10
	v_xor_b32_e32 v10, v10, v11
	v_xor_b32_e32 v10, 0xc761c23c, v10
	v_lshl_add_u32 v10, v10, 5, v10
	v_mov_b32_e32 v12, 0xaccf6200
	v_add_u32_e32 v11, 0xe9f8cc1d, v10
	v_lshl_add_u32 v10, v10, 9, v12
	v_xor_b32_e32 v10, v11, v10
	v_lshlrev_b32_e32 v11, 3, v10
	s_mov_b32 s0, 0xfd7046c5
	v_add3_u32 v10, v10, v11, s0
	v_xor_b32_sdwa v10, v10, v10 dst_sel:DWORD dst_unused:UNUSED_PAD src0_sel:DWORD src1_sel:WORD_1
	v_xor_b32_e32 v10, 0xb55a4f09, v10
	v_mul_hi_u32 v11, v10, 3
	v_sub_u32_e32 v12, v10, v11
	v_lshrrev_b32_e32 v12, 1, v12
	v_add_u32_e32 v11, v12, v11
	v_lshrrev_b32_e32 v11, 30, v11
	s_brev_b32 s0, -2
	v_mul_lo_u32 v11, v11, s0
	v_sub_u32_e32 v10, v10, v11
	v_max_u32_e32 v12, 1, v10
	s_movk_i32 s3, 0x2710
	v_mov_b32_e32 v10, 0
	s_mov_b32 s4, 0xbc8f1391
	s_mov_b32 s5, 0xbc8f
	s_brev_b32 s8, 12
	s_mov_b32 s9, 0xf800000
	v_mov_b32_e32 v11, 0x260
.LBB29_158:                             ; =>This Inner Loop Header: Depth=1
	v_mul_hi_u32 v13, v12, s4
	v_lshrrev_b32_e32 v13, 15, v13
	v_mul_u32_u24_e32 v15, 0xadc8, v13
	v_sub_u32_e32 v12, v12, v15
	v_mul_u32_u24_e32 v13, 0xd47, v13
	v_mul_lo_u32 v12, v12, s5
	v_xor_b32_e32 v15, 0x7fffffff, v13
	v_sub_u32_e32 v16, 0, v13
	v_cmp_lt_u32_e32 vcc, v12, v13
	v_cndmask_b32_e32 v13, v16, v15, vcc
	v_add_u32_e32 v12, v13, v12
	v_mul_hi_u32 v15, v12, s4
	v_lshrrev_b32_e32 v15, 15, v15
	v_mul_u32_u24_e32 v16, 0xadc8, v15
	v_add_u32_e32 v13, -1, v12
	v_sub_u32_e32 v12, v12, v16
	v_mul_u32_u24_e32 v15, 0xd47, v15
	v_mul_lo_u32 v12, v12, s5
	v_xor_b32_e32 v16, 0x7fffffff, v15
	v_sub_u32_e32 v17, 0, v15
	v_cmp_lt_u32_e32 vcc, v12, v15
	v_cndmask_b32_e32 v15, v17, v16, vcc
	v_add_u32_e32 v12, v15, v12
	v_mul_hi_u32 v16, v12, s4
	v_add_u32_e32 v15, -1, v12
	v_lshrrev_b32_e32 v16, 15, v16
	v_cvt_f32_u32_e32 v15, v15
	v_mul_u32_u24_e32 v17, 0xadc8, v16
	v_cvt_f32_u32_e32 v13, v13
	v_sub_u32_e32 v12, v12, v17
	v_mul_u32_u24_e32 v16, 0xd47, v16
	v_mul_lo_u32 v12, v12, s5
	v_xor_b32_e32 v17, 0x7fffffff, v16
	v_sub_u32_e32 v18, 0, v16
	v_cmp_lt_u32_e32 vcc, v12, v16
	v_fma_f32 v15, v15, s8, 0
	v_cndmask_b32_e32 v16, v18, v17, vcc
	v_fma_f32 v13, v13, s8, 0
	v_mul_f32_e32 v15, v15, v15
	v_add_u32_e32 v12, v16, v12
	v_fmac_f32_e32 v15, v13, v13
	v_mul_hi_u32 v16, v12, s4
	v_mul_f32_e32 v17, 0x4f800000, v15
	v_lshrrev_b32_e32 v16, 15, v16
	v_cmp_gt_f32_e32 vcc, s9, v15
	v_cndmask_b32_e32 v15, v15, v17, vcc
	v_mul_u32_u24_e32 v17, 0xadc8, v16
	v_add_u32_e32 v13, -1, v12
	v_sqrt_f32_e32 v18, v15
	v_sub_u32_e32 v12, v12, v17
	v_mul_u32_u24_e32 v16, 0xd47, v16
	v_mul_lo_u32 v12, v12, s5
	v_xor_b32_e32 v17, 0x7fffffff, v16
	v_sub_u32_e32 v19, 0, v16
	v_cmp_lt_u32_e64 s[0:1], v12, v16
	v_cndmask_b32_e64 v16, v19, v17, s[0:1]
	v_add_u32_e32 v12, v16, v12
	v_add_u32_e32 v16, -1, v18
	v_add_u32_e32 v17, 1, v18
	v_add_u32_e32 v19, -1, v12
	v_fma_f32 v20, -v16, v18, v15
	v_fma_f32 v21, -v17, v18, v15
	v_cvt_f32_u32_e32 v19, v19
	v_cmp_ge_f32_e64 s[0:1], 0, v20
	v_cvt_f32_u32_e32 v13, v13
	v_cndmask_b32_e64 v16, v18, v16, s[0:1]
	v_cmp_lt_f32_e64 s[0:1], 0, v21
	v_cndmask_b32_e64 v16, v16, v17, s[0:1]
	v_mul_f32_e32 v17, 0x37800000, v16
	v_cndmask_b32_e32 v16, v16, v17, vcc
	v_fma_f32 v17, v19, s8, 0
	v_cmp_class_f32_e32 vcc, v15, v11
	v_fma_f32 v13, v13, s8, 0
	v_cndmask_b32_e32 v15, v16, v15, vcc
	v_mul_f32_e32 v16, v17, v17
	v_add_f32_e32 v14, 1.0, v10
	v_cmp_nge_f32_e32 vcc, 1.0, v15
	v_fmac_f32_e32 v16, v13, v13
	v_cndmask_b32_e32 v10, v14, v10, vcc
	v_mul_f32_e32 v13, 0x4f800000, v16
	v_cmp_gt_f32_e32 vcc, s9, v16
	v_cndmask_b32_e32 v13, v16, v13, vcc
	v_sqrt_f32_e32 v15, v13
	s_add_i32 s3, s3, -2
	v_add_f32_e32 v14, 1.0, v10
	s_cmp_lg_u32 s3, 0
	v_add_u32_e32 v16, -1, v15
	v_add_u32_e32 v17, 1, v15
	v_fma_f32 v18, -v16, v15, v13
	v_fma_f32 v19, -v17, v15, v13
	v_cmp_ge_f32_e64 s[0:1], 0, v18
	v_cndmask_b32_e64 v15, v15, v16, s[0:1]
	v_cmp_lt_f32_e64 s[0:1], 0, v19
	v_cndmask_b32_e64 v15, v15, v17, s[0:1]
	v_mul_f32_e32 v16, 0x37800000, v15
	v_cndmask_b32_e32 v15, v15, v16, vcc
	v_cmp_class_f32_e32 vcc, v13, v11
	v_cndmask_b32_e32 v13, v15, v13, vcc
	v_cmp_nge_f32_e32 vcc, 1.0, v13
	v_cndmask_b32_e32 v10, v14, v10, vcc
	s_cbranch_scc1 .LBB29_158
; %bb.159:
	v_add_u32_e32 v11, 0x7f1d6196, v4
	v_lshrrev_b32_e32 v12, 19, v11
	v_xor_b32_e32 v11, v11, v12
	v_xor_b32_e32 v11, 0xc761c23c, v11
	v_lshl_add_u32 v11, v11, 5, v11
	v_mov_b32_e32 v13, 0xaccf6200
	v_add_u32_e32 v12, 0xe9f8cc1d, v11
	v_lshl_add_u32 v11, v11, 9, v13
	v_xor_b32_e32 v11, v12, v11
	v_lshlrev_b32_e32 v12, 3, v11
	s_mov_b32 s0, 0xfd7046c5
	v_add3_u32 v11, v11, v12, s0
	v_xor_b32_sdwa v11, v11, v11 dst_sel:DWORD dst_unused:UNUSED_PAD src0_sel:DWORD src1_sel:WORD_1
	v_xor_b32_e32 v11, 0xb55a4f09, v11
	v_mul_hi_u32 v12, v11, 3
	v_sub_u32_e32 v13, v11, v12
	v_lshrrev_b32_e32 v13, 1, v13
	v_add_u32_e32 v12, v13, v12
	v_lshrrev_b32_e32 v12, 30, v12
	s_brev_b32 s0, -2
	v_mul_lo_u32 v12, v12, s0
	v_sub_u32_e32 v11, v11, v12
	v_max_u32_e32 v13, 1, v11
	s_movk_i32 s3, 0x2710
	v_mov_b32_e32 v11, 0
	s_mov_b32 s4, 0xbc8f1391
	s_mov_b32 s5, 0xbc8f
	s_brev_b32 s8, 12
	s_mov_b32 s9, 0xf800000
	v_mov_b32_e32 v12, 0x260
.LBB29_160:                             ; =>This Inner Loop Header: Depth=1
	v_mul_hi_u32 v14, v13, s4
	v_lshrrev_b32_e32 v14, 15, v14
	v_mul_u32_u24_e32 v16, 0xadc8, v14
	v_sub_u32_e32 v13, v13, v16
	v_mul_u32_u24_e32 v14, 0xd47, v14
	v_mul_lo_u32 v13, v13, s5
	v_xor_b32_e32 v16, 0x7fffffff, v14
	v_sub_u32_e32 v17, 0, v14
	v_cmp_lt_u32_e32 vcc, v13, v14
	v_cndmask_b32_e32 v14, v17, v16, vcc
	v_add_u32_e32 v13, v14, v13
	v_mul_hi_u32 v16, v13, s4
	v_lshrrev_b32_e32 v16, 15, v16
	v_mul_u32_u24_e32 v17, 0xadc8, v16
	v_add_u32_e32 v14, -1, v13
	v_sub_u32_e32 v13, v13, v17
	v_mul_u32_u24_e32 v16, 0xd47, v16
	v_mul_lo_u32 v13, v13, s5
	v_xor_b32_e32 v17, 0x7fffffff, v16
	v_sub_u32_e32 v18, 0, v16
	v_cmp_lt_u32_e32 vcc, v13, v16
	v_cndmask_b32_e32 v16, v18, v17, vcc
	v_add_u32_e32 v13, v16, v13
	v_mul_hi_u32 v17, v13, s4
	v_add_u32_e32 v16, -1, v13
	v_lshrrev_b32_e32 v17, 15, v17
	v_cvt_f32_u32_e32 v16, v16
	v_mul_u32_u24_e32 v18, 0xadc8, v17
	v_cvt_f32_u32_e32 v14, v14
	v_sub_u32_e32 v13, v13, v18
	v_mul_u32_u24_e32 v17, 0xd47, v17
	v_mul_lo_u32 v13, v13, s5
	v_xor_b32_e32 v18, 0x7fffffff, v17
	v_sub_u32_e32 v19, 0, v17
	v_cmp_lt_u32_e32 vcc, v13, v17
	v_fma_f32 v16, v16, s8, 0
	v_cndmask_b32_e32 v17, v19, v18, vcc
	v_fma_f32 v14, v14, s8, 0
	v_mul_f32_e32 v16, v16, v16
	v_add_u32_e32 v13, v17, v13
	v_fmac_f32_e32 v16, v14, v14
	v_mul_hi_u32 v17, v13, s4
	v_mul_f32_e32 v18, 0x4f800000, v16
	v_lshrrev_b32_e32 v17, 15, v17
	v_cmp_gt_f32_e32 vcc, s9, v16
	v_cndmask_b32_e32 v16, v16, v18, vcc
	v_mul_u32_u24_e32 v18, 0xadc8, v17
	v_add_u32_e32 v14, -1, v13
	v_sqrt_f32_e32 v19, v16
	v_sub_u32_e32 v13, v13, v18
	v_mul_u32_u24_e32 v17, 0xd47, v17
	v_mul_lo_u32 v13, v13, s5
	v_xor_b32_e32 v18, 0x7fffffff, v17
	v_sub_u32_e32 v20, 0, v17
	v_cmp_lt_u32_e64 s[0:1], v13, v17
	v_cndmask_b32_e64 v17, v20, v18, s[0:1]
	v_add_u32_e32 v13, v17, v13
	v_add_u32_e32 v17, -1, v19
	v_add_u32_e32 v18, 1, v19
	v_add_u32_e32 v20, -1, v13
	v_fma_f32 v21, -v17, v19, v16
	v_fma_f32 v22, -v18, v19, v16
	v_cvt_f32_u32_e32 v20, v20
	v_cmp_ge_f32_e64 s[0:1], 0, v21
	v_cvt_f32_u32_e32 v14, v14
	v_cndmask_b32_e64 v17, v19, v17, s[0:1]
	v_cmp_lt_f32_e64 s[0:1], 0, v22
	v_cndmask_b32_e64 v17, v17, v18, s[0:1]
	v_mul_f32_e32 v18, 0x37800000, v17
	v_cndmask_b32_e32 v17, v17, v18, vcc
	v_fma_f32 v18, v20, s8, 0
	v_cmp_class_f32_e32 vcc, v16, v12
	v_fma_f32 v14, v14, s8, 0
	v_cndmask_b32_e32 v16, v17, v16, vcc
	v_mul_f32_e32 v17, v18, v18
	v_add_f32_e32 v15, 1.0, v11
	v_cmp_nge_f32_e32 vcc, 1.0, v16
	v_fmac_f32_e32 v17, v14, v14
	v_cndmask_b32_e32 v11, v15, v11, vcc
	v_mul_f32_e32 v14, 0x4f800000, v17
	v_cmp_gt_f32_e32 vcc, s9, v17
	v_cndmask_b32_e32 v14, v17, v14, vcc
	v_sqrt_f32_e32 v16, v14
	s_add_i32 s3, s3, -2
	v_add_f32_e32 v15, 1.0, v11
	s_cmp_lg_u32 s3, 0
	v_add_u32_e32 v17, -1, v16
	v_add_u32_e32 v18, 1, v16
	v_fma_f32 v19, -v17, v16, v14
	v_fma_f32 v20, -v18, v16, v14
	v_cmp_ge_f32_e64 s[0:1], 0, v19
	v_cndmask_b32_e64 v16, v16, v17, s[0:1]
	v_cmp_lt_f32_e64 s[0:1], 0, v20
	v_cndmask_b32_e64 v16, v16, v18, s[0:1]
	v_mul_f32_e32 v17, 0x37800000, v16
	v_cndmask_b32_e32 v16, v16, v17, vcc
	v_cmp_class_f32_e32 vcc, v14, v12
	v_cndmask_b32_e32 v14, v16, v14, vcc
	v_cmp_nge_f32_e32 vcc, 1.0, v14
	v_cndmask_b32_e32 v11, v15, v11, vcc
	s_cbranch_scc1 .LBB29_160
; %bb.161:
	v_add_u32_e32 v12, 0x7f256216, v4
	v_lshrrev_b32_e32 v13, 19, v12
	v_xor_b32_e32 v12, v12, v13
	v_xor_b32_e32 v12, 0xc761c23c, v12
	v_lshl_add_u32 v12, v12, 5, v12
	v_mov_b32_e32 v14, 0xaccf6200
	v_add_u32_e32 v13, 0xe9f8cc1d, v12
	v_lshl_add_u32 v12, v12, 9, v14
	v_xor_b32_e32 v12, v13, v12
	v_lshlrev_b32_e32 v13, 3, v12
	s_mov_b32 s0, 0xfd7046c5
	v_add3_u32 v12, v12, v13, s0
	v_xor_b32_sdwa v12, v12, v12 dst_sel:DWORD dst_unused:UNUSED_PAD src0_sel:DWORD src1_sel:WORD_1
	v_xor_b32_e32 v12, 0xb55a4f09, v12
	v_mul_hi_u32 v13, v12, 3
	v_sub_u32_e32 v14, v12, v13
	v_lshrrev_b32_e32 v14, 1, v14
	v_add_u32_e32 v13, v14, v13
	v_lshrrev_b32_e32 v13, 30, v13
	s_brev_b32 s0, -2
	v_mul_lo_u32 v13, v13, s0
	v_sub_u32_e32 v12, v12, v13
	v_max_u32_e32 v14, 1, v12
	s_movk_i32 s3, 0x2710
	v_mov_b32_e32 v12, 0
	s_mov_b32 s4, 0xbc8f1391
	s_mov_b32 s5, 0xbc8f
	s_brev_b32 s8, 12
	s_mov_b32 s9, 0xf800000
	v_mov_b32_e32 v13, 0x260
.LBB29_162:                             ; =>This Inner Loop Header: Depth=1
	v_mul_hi_u32 v15, v14, s4
	v_lshrrev_b32_e32 v15, 15, v15
	v_mul_u32_u24_e32 v17, 0xadc8, v15
	v_sub_u32_e32 v14, v14, v17
	v_mul_u32_u24_e32 v15, 0xd47, v15
	v_mul_lo_u32 v14, v14, s5
	v_xor_b32_e32 v17, 0x7fffffff, v15
	v_sub_u32_e32 v18, 0, v15
	v_cmp_lt_u32_e32 vcc, v14, v15
	v_cndmask_b32_e32 v15, v18, v17, vcc
	v_add_u32_e32 v14, v15, v14
	v_mul_hi_u32 v17, v14, s4
	v_lshrrev_b32_e32 v17, 15, v17
	v_mul_u32_u24_e32 v18, 0xadc8, v17
	v_add_u32_e32 v15, -1, v14
	v_sub_u32_e32 v14, v14, v18
	v_mul_u32_u24_e32 v17, 0xd47, v17
	v_mul_lo_u32 v14, v14, s5
	v_xor_b32_e32 v18, 0x7fffffff, v17
	v_sub_u32_e32 v19, 0, v17
	v_cmp_lt_u32_e32 vcc, v14, v17
	v_cndmask_b32_e32 v17, v19, v18, vcc
	v_add_u32_e32 v14, v17, v14
	v_mul_hi_u32 v18, v14, s4
	v_add_u32_e32 v17, -1, v14
	v_lshrrev_b32_e32 v18, 15, v18
	v_cvt_f32_u32_e32 v17, v17
	v_mul_u32_u24_e32 v19, 0xadc8, v18
	v_cvt_f32_u32_e32 v15, v15
	v_sub_u32_e32 v14, v14, v19
	v_mul_u32_u24_e32 v18, 0xd47, v18
	v_mul_lo_u32 v14, v14, s5
	v_xor_b32_e32 v19, 0x7fffffff, v18
	v_sub_u32_e32 v20, 0, v18
	v_cmp_lt_u32_e32 vcc, v14, v18
	v_fma_f32 v17, v17, s8, 0
	v_cndmask_b32_e32 v18, v20, v19, vcc
	v_fma_f32 v15, v15, s8, 0
	v_mul_f32_e32 v17, v17, v17
	v_add_u32_e32 v14, v18, v14
	v_fmac_f32_e32 v17, v15, v15
	v_mul_hi_u32 v18, v14, s4
	v_mul_f32_e32 v19, 0x4f800000, v17
	v_lshrrev_b32_e32 v18, 15, v18
	v_cmp_gt_f32_e32 vcc, s9, v17
	v_cndmask_b32_e32 v17, v17, v19, vcc
	v_mul_u32_u24_e32 v19, 0xadc8, v18
	v_add_u32_e32 v15, -1, v14
	v_sqrt_f32_e32 v20, v17
	v_sub_u32_e32 v14, v14, v19
	v_mul_u32_u24_e32 v18, 0xd47, v18
	v_mul_lo_u32 v14, v14, s5
	v_xor_b32_e32 v19, 0x7fffffff, v18
	v_sub_u32_e32 v21, 0, v18
	v_cmp_lt_u32_e64 s[0:1], v14, v18
	v_cndmask_b32_e64 v18, v21, v19, s[0:1]
	v_add_u32_e32 v14, v18, v14
	v_add_u32_e32 v18, -1, v20
	v_add_u32_e32 v19, 1, v20
	v_add_u32_e32 v21, -1, v14
	v_fma_f32 v22, -v18, v20, v17
	v_fma_f32 v23, -v19, v20, v17
	v_cvt_f32_u32_e32 v21, v21
	v_cmp_ge_f32_e64 s[0:1], 0, v22
	v_cvt_f32_u32_e32 v15, v15
	v_cndmask_b32_e64 v18, v20, v18, s[0:1]
	v_cmp_lt_f32_e64 s[0:1], 0, v23
	v_cndmask_b32_e64 v18, v18, v19, s[0:1]
	v_mul_f32_e32 v19, 0x37800000, v18
	v_cndmask_b32_e32 v18, v18, v19, vcc
	v_fma_f32 v19, v21, s8, 0
	v_cmp_class_f32_e32 vcc, v17, v13
	v_fma_f32 v15, v15, s8, 0
	v_cndmask_b32_e32 v17, v18, v17, vcc
	v_mul_f32_e32 v18, v19, v19
	v_add_f32_e32 v16, 1.0, v12
	v_cmp_nge_f32_e32 vcc, 1.0, v17
	v_fmac_f32_e32 v18, v15, v15
	v_cndmask_b32_e32 v12, v16, v12, vcc
	v_mul_f32_e32 v15, 0x4f800000, v18
	v_cmp_gt_f32_e32 vcc, s9, v18
	v_cndmask_b32_e32 v15, v18, v15, vcc
	v_sqrt_f32_e32 v17, v15
	s_add_i32 s3, s3, -2
	v_add_f32_e32 v16, 1.0, v12
	s_cmp_lg_u32 s3, 0
	v_add_u32_e32 v18, -1, v17
	v_add_u32_e32 v19, 1, v17
	v_fma_f32 v20, -v18, v17, v15
	v_fma_f32 v21, -v19, v17, v15
	v_cmp_ge_f32_e64 s[0:1], 0, v20
	v_cndmask_b32_e64 v17, v17, v18, s[0:1]
	v_cmp_lt_f32_e64 s[0:1], 0, v21
	v_cndmask_b32_e64 v17, v17, v19, s[0:1]
	v_mul_f32_e32 v18, 0x37800000, v17
	v_cndmask_b32_e32 v17, v17, v18, vcc
	v_cmp_class_f32_e32 vcc, v15, v13
	v_cndmask_b32_e32 v15, v17, v15, vcc
	v_cmp_nge_f32_e32 vcc, 1.0, v15
	v_cndmask_b32_e32 v12, v16, v12, vcc
	s_cbranch_scc1 .LBB29_162
; %bb.163:
	v_add_u32_e32 v13, 0x7f2d6296, v4
	v_lshrrev_b32_e32 v14, 19, v13
	v_xor_b32_e32 v13, v13, v14
	v_xor_b32_e32 v13, 0xc761c23c, v13
	v_lshl_add_u32 v13, v13, 5, v13
	v_mov_b32_e32 v15, 0xaccf6200
	v_add_u32_e32 v14, 0xe9f8cc1d, v13
	v_lshl_add_u32 v13, v13, 9, v15
	v_xor_b32_e32 v13, v14, v13
	v_lshlrev_b32_e32 v14, 3, v13
	s_mov_b32 s0, 0xfd7046c5
	v_add3_u32 v13, v13, v14, s0
	v_xor_b32_sdwa v13, v13, v13 dst_sel:DWORD dst_unused:UNUSED_PAD src0_sel:DWORD src1_sel:WORD_1
	v_xor_b32_e32 v13, 0xb55a4f09, v13
	v_mul_hi_u32 v14, v13, 3
	v_sub_u32_e32 v15, v13, v14
	v_lshrrev_b32_e32 v15, 1, v15
	v_add_u32_e32 v14, v15, v14
	v_lshrrev_b32_e32 v14, 30, v14
	s_brev_b32 s0, -2
	v_mul_lo_u32 v14, v14, s0
	v_sub_u32_e32 v13, v13, v14
	v_max_u32_e32 v15, 1, v13
	s_movk_i32 s3, 0x2710
	v_mov_b32_e32 v13, 0
	s_mov_b32 s4, 0xbc8f1391
	s_mov_b32 s5, 0xbc8f
	s_brev_b32 s8, 12
	s_mov_b32 s9, 0xf800000
	v_mov_b32_e32 v14, 0x260
.LBB29_164:                             ; =>This Inner Loop Header: Depth=1
	v_mul_hi_u32 v16, v15, s4
	v_lshrrev_b32_e32 v16, 15, v16
	v_mul_u32_u24_e32 v18, 0xadc8, v16
	v_sub_u32_e32 v15, v15, v18
	v_mul_u32_u24_e32 v16, 0xd47, v16
	v_mul_lo_u32 v15, v15, s5
	v_xor_b32_e32 v18, 0x7fffffff, v16
	v_sub_u32_e32 v19, 0, v16
	v_cmp_lt_u32_e32 vcc, v15, v16
	v_cndmask_b32_e32 v16, v19, v18, vcc
	v_add_u32_e32 v15, v16, v15
	v_mul_hi_u32 v18, v15, s4
	v_lshrrev_b32_e32 v18, 15, v18
	v_mul_u32_u24_e32 v19, 0xadc8, v18
	v_add_u32_e32 v16, -1, v15
	v_sub_u32_e32 v15, v15, v19
	v_mul_u32_u24_e32 v18, 0xd47, v18
	v_mul_lo_u32 v15, v15, s5
	v_xor_b32_e32 v19, 0x7fffffff, v18
	v_sub_u32_e32 v20, 0, v18
	v_cmp_lt_u32_e32 vcc, v15, v18
	v_cndmask_b32_e32 v18, v20, v19, vcc
	v_add_u32_e32 v15, v18, v15
	v_mul_hi_u32 v19, v15, s4
	v_add_u32_e32 v18, -1, v15
	v_lshrrev_b32_e32 v19, 15, v19
	v_cvt_f32_u32_e32 v18, v18
	v_mul_u32_u24_e32 v20, 0xadc8, v19
	v_cvt_f32_u32_e32 v16, v16
	v_sub_u32_e32 v15, v15, v20
	v_mul_u32_u24_e32 v19, 0xd47, v19
	v_mul_lo_u32 v15, v15, s5
	v_xor_b32_e32 v20, 0x7fffffff, v19
	v_sub_u32_e32 v21, 0, v19
	v_cmp_lt_u32_e32 vcc, v15, v19
	v_fma_f32 v18, v18, s8, 0
	v_cndmask_b32_e32 v19, v21, v20, vcc
	v_fma_f32 v16, v16, s8, 0
	v_mul_f32_e32 v18, v18, v18
	v_add_u32_e32 v15, v19, v15
	v_fmac_f32_e32 v18, v16, v16
	v_mul_hi_u32 v19, v15, s4
	v_mul_f32_e32 v20, 0x4f800000, v18
	v_lshrrev_b32_e32 v19, 15, v19
	v_cmp_gt_f32_e32 vcc, s9, v18
	v_cndmask_b32_e32 v18, v18, v20, vcc
	v_mul_u32_u24_e32 v20, 0xadc8, v19
	v_add_u32_e32 v16, -1, v15
	v_sqrt_f32_e32 v21, v18
	v_sub_u32_e32 v15, v15, v20
	v_mul_u32_u24_e32 v19, 0xd47, v19
	v_mul_lo_u32 v15, v15, s5
	v_xor_b32_e32 v20, 0x7fffffff, v19
	v_sub_u32_e32 v22, 0, v19
	v_cmp_lt_u32_e64 s[0:1], v15, v19
	v_cndmask_b32_e64 v19, v22, v20, s[0:1]
	v_add_u32_e32 v15, v19, v15
	v_add_u32_e32 v19, -1, v21
	v_add_u32_e32 v20, 1, v21
	v_add_u32_e32 v22, -1, v15
	v_fma_f32 v23, -v19, v21, v18
	v_fma_f32 v24, -v20, v21, v18
	v_cvt_f32_u32_e32 v22, v22
	v_cmp_ge_f32_e64 s[0:1], 0, v23
	v_cvt_f32_u32_e32 v16, v16
	v_cndmask_b32_e64 v19, v21, v19, s[0:1]
	v_cmp_lt_f32_e64 s[0:1], 0, v24
	v_cndmask_b32_e64 v19, v19, v20, s[0:1]
	v_mul_f32_e32 v20, 0x37800000, v19
	v_cndmask_b32_e32 v19, v19, v20, vcc
	v_fma_f32 v20, v22, s8, 0
	v_cmp_class_f32_e32 vcc, v18, v14
	v_fma_f32 v16, v16, s8, 0
	v_cndmask_b32_e32 v18, v19, v18, vcc
	v_mul_f32_e32 v19, v20, v20
	v_add_f32_e32 v17, 1.0, v13
	v_cmp_nge_f32_e32 vcc, 1.0, v18
	v_fmac_f32_e32 v19, v16, v16
	v_cndmask_b32_e32 v13, v17, v13, vcc
	v_mul_f32_e32 v16, 0x4f800000, v19
	v_cmp_gt_f32_e32 vcc, s9, v19
	v_cndmask_b32_e32 v16, v19, v16, vcc
	v_sqrt_f32_e32 v18, v16
	s_add_i32 s3, s3, -2
	v_add_f32_e32 v17, 1.0, v13
	s_cmp_lg_u32 s3, 0
	v_add_u32_e32 v19, -1, v18
	v_add_u32_e32 v20, 1, v18
	v_fma_f32 v21, -v19, v18, v16
	v_fma_f32 v22, -v20, v18, v16
	v_cmp_ge_f32_e64 s[0:1], 0, v21
	v_cndmask_b32_e64 v18, v18, v19, s[0:1]
	v_cmp_lt_f32_e64 s[0:1], 0, v22
	v_cndmask_b32_e64 v18, v18, v20, s[0:1]
	v_mul_f32_e32 v19, 0x37800000, v18
	v_cndmask_b32_e32 v18, v18, v19, vcc
	v_cmp_class_f32_e32 vcc, v16, v14
	v_cndmask_b32_e32 v16, v18, v16, vcc
	v_cmp_nge_f32_e32 vcc, 1.0, v16
	v_cndmask_b32_e32 v13, v17, v13, vcc
	s_cbranch_scc1 .LBB29_164
; %bb.165:
	v_add_u32_e32 v14, 0x7f356316, v4
	v_lshrrev_b32_e32 v15, 19, v14
	v_xor_b32_e32 v14, v14, v15
	v_xor_b32_e32 v14, 0xc761c23c, v14
	v_lshl_add_u32 v14, v14, 5, v14
	v_mov_b32_e32 v16, 0xaccf6200
	v_add_u32_e32 v15, 0xe9f8cc1d, v14
	v_lshl_add_u32 v14, v14, 9, v16
	v_xor_b32_e32 v14, v15, v14
	v_lshlrev_b32_e32 v15, 3, v14
	s_mov_b32 s0, 0xfd7046c5
	v_add3_u32 v14, v14, v15, s0
	v_xor_b32_sdwa v14, v14, v14 dst_sel:DWORD dst_unused:UNUSED_PAD src0_sel:DWORD src1_sel:WORD_1
	v_xor_b32_e32 v14, 0xb55a4f09, v14
	v_mul_hi_u32 v15, v14, 3
	v_sub_u32_e32 v16, v14, v15
	v_lshrrev_b32_e32 v16, 1, v16
	v_add_u32_e32 v15, v16, v15
	v_lshrrev_b32_e32 v15, 30, v15
	s_brev_b32 s0, -2
	v_mul_lo_u32 v15, v15, s0
	v_sub_u32_e32 v14, v14, v15
	v_max_u32_e32 v16, 1, v14
	s_movk_i32 s3, 0x2710
	v_mov_b32_e32 v14, 0
	s_mov_b32 s4, 0xbc8f1391
	s_mov_b32 s5, 0xbc8f
	s_brev_b32 s8, 12
	s_mov_b32 s9, 0xf800000
	v_mov_b32_e32 v15, 0x260
.LBB29_166:                             ; =>This Inner Loop Header: Depth=1
	v_mul_hi_u32 v17, v16, s4
	v_lshrrev_b32_e32 v17, 15, v17
	v_mul_u32_u24_e32 v19, 0xadc8, v17
	v_sub_u32_e32 v16, v16, v19
	v_mul_u32_u24_e32 v17, 0xd47, v17
	v_mul_lo_u32 v16, v16, s5
	v_xor_b32_e32 v19, 0x7fffffff, v17
	v_sub_u32_e32 v20, 0, v17
	v_cmp_lt_u32_e32 vcc, v16, v17
	v_cndmask_b32_e32 v17, v20, v19, vcc
	v_add_u32_e32 v16, v17, v16
	v_mul_hi_u32 v19, v16, s4
	v_lshrrev_b32_e32 v19, 15, v19
	v_mul_u32_u24_e32 v20, 0xadc8, v19
	v_add_u32_e32 v17, -1, v16
	v_sub_u32_e32 v16, v16, v20
	v_mul_u32_u24_e32 v19, 0xd47, v19
	v_mul_lo_u32 v16, v16, s5
	v_xor_b32_e32 v20, 0x7fffffff, v19
	v_sub_u32_e32 v21, 0, v19
	v_cmp_lt_u32_e32 vcc, v16, v19
	v_cndmask_b32_e32 v19, v21, v20, vcc
	v_add_u32_e32 v16, v19, v16
	v_mul_hi_u32 v20, v16, s4
	v_add_u32_e32 v19, -1, v16
	v_lshrrev_b32_e32 v20, 15, v20
	v_cvt_f32_u32_e32 v19, v19
	v_mul_u32_u24_e32 v21, 0xadc8, v20
	v_cvt_f32_u32_e32 v17, v17
	v_sub_u32_e32 v16, v16, v21
	v_mul_u32_u24_e32 v20, 0xd47, v20
	v_mul_lo_u32 v16, v16, s5
	v_xor_b32_e32 v21, 0x7fffffff, v20
	v_sub_u32_e32 v22, 0, v20
	v_cmp_lt_u32_e32 vcc, v16, v20
	v_fma_f32 v19, v19, s8, 0
	v_cndmask_b32_e32 v20, v22, v21, vcc
	v_fma_f32 v17, v17, s8, 0
	v_mul_f32_e32 v19, v19, v19
	v_add_u32_e32 v16, v20, v16
	v_fmac_f32_e32 v19, v17, v17
	v_mul_hi_u32 v20, v16, s4
	v_mul_f32_e32 v21, 0x4f800000, v19
	v_lshrrev_b32_e32 v20, 15, v20
	v_cmp_gt_f32_e32 vcc, s9, v19
	v_cndmask_b32_e32 v19, v19, v21, vcc
	v_mul_u32_u24_e32 v21, 0xadc8, v20
	v_add_u32_e32 v17, -1, v16
	v_sqrt_f32_e32 v22, v19
	v_sub_u32_e32 v16, v16, v21
	v_mul_u32_u24_e32 v20, 0xd47, v20
	v_mul_lo_u32 v16, v16, s5
	v_xor_b32_e32 v21, 0x7fffffff, v20
	v_sub_u32_e32 v23, 0, v20
	v_cmp_lt_u32_e64 s[0:1], v16, v20
	v_cndmask_b32_e64 v20, v23, v21, s[0:1]
	v_add_u32_e32 v16, v20, v16
	v_add_u32_e32 v20, -1, v22
	v_add_u32_e32 v21, 1, v22
	v_add_u32_e32 v23, -1, v16
	v_fma_f32 v24, -v20, v22, v19
	v_fma_f32 v25, -v21, v22, v19
	v_cvt_f32_u32_e32 v23, v23
	v_cmp_ge_f32_e64 s[0:1], 0, v24
	v_cvt_f32_u32_e32 v17, v17
	v_cndmask_b32_e64 v20, v22, v20, s[0:1]
	v_cmp_lt_f32_e64 s[0:1], 0, v25
	v_cndmask_b32_e64 v20, v20, v21, s[0:1]
	v_mul_f32_e32 v21, 0x37800000, v20
	v_cndmask_b32_e32 v20, v20, v21, vcc
	v_fma_f32 v21, v23, s8, 0
	v_cmp_class_f32_e32 vcc, v19, v15
	v_fma_f32 v17, v17, s8, 0
	v_cndmask_b32_e32 v19, v20, v19, vcc
	v_mul_f32_e32 v20, v21, v21
	v_add_f32_e32 v18, 1.0, v14
	v_cmp_nge_f32_e32 vcc, 1.0, v19
	v_fmac_f32_e32 v20, v17, v17
	v_cndmask_b32_e32 v14, v18, v14, vcc
	v_mul_f32_e32 v17, 0x4f800000, v20
	v_cmp_gt_f32_e32 vcc, s9, v20
	v_cndmask_b32_e32 v17, v20, v17, vcc
	v_sqrt_f32_e32 v19, v17
	s_add_i32 s3, s3, -2
	v_add_f32_e32 v18, 1.0, v14
	s_cmp_lg_u32 s3, 0
	v_add_u32_e32 v20, -1, v19
	v_add_u32_e32 v21, 1, v19
	v_fma_f32 v22, -v20, v19, v17
	v_fma_f32 v23, -v21, v19, v17
	v_cmp_ge_f32_e64 s[0:1], 0, v22
	v_cndmask_b32_e64 v19, v19, v20, s[0:1]
	v_cmp_lt_f32_e64 s[0:1], 0, v23
	v_cndmask_b32_e64 v19, v19, v21, s[0:1]
	v_mul_f32_e32 v20, 0x37800000, v19
	v_cndmask_b32_e32 v19, v19, v20, vcc
	v_cmp_class_f32_e32 vcc, v17, v15
	v_cndmask_b32_e32 v17, v19, v17, vcc
	v_cmp_nge_f32_e32 vcc, 1.0, v17
	v_cndmask_b32_e32 v14, v18, v14, vcc
	s_cbranch_scc1 .LBB29_166
; %bb.167:
	v_add_u32_e32 v15, 0x7f3d6396, v4
	v_lshrrev_b32_e32 v16, 19, v15
	v_xor_b32_e32 v15, v15, v16
	v_xor_b32_e32 v15, 0xc761c23c, v15
	v_lshl_add_u32 v15, v15, 5, v15
	v_mov_b32_e32 v17, 0xaccf6200
	v_add_u32_e32 v16, 0xe9f8cc1d, v15
	v_lshl_add_u32 v15, v15, 9, v17
	v_xor_b32_e32 v15, v16, v15
	v_lshlrev_b32_e32 v16, 3, v15
	s_mov_b32 s0, 0xfd7046c5
	v_add3_u32 v15, v15, v16, s0
	v_xor_b32_sdwa v15, v15, v15 dst_sel:DWORD dst_unused:UNUSED_PAD src0_sel:DWORD src1_sel:WORD_1
	v_xor_b32_e32 v15, 0xb55a4f09, v15
	v_mul_hi_u32 v16, v15, 3
	v_sub_u32_e32 v17, v15, v16
	v_lshrrev_b32_e32 v17, 1, v17
	v_add_u32_e32 v16, v17, v16
	v_lshrrev_b32_e32 v16, 30, v16
	s_brev_b32 s0, -2
	v_mul_lo_u32 v16, v16, s0
	v_sub_u32_e32 v15, v15, v16
	v_max_u32_e32 v17, 1, v15
	s_movk_i32 s3, 0x2710
	v_mov_b32_e32 v15, 0
	s_mov_b32 s4, 0xbc8f1391
	s_mov_b32 s5, 0xbc8f
	s_brev_b32 s8, 12
	s_mov_b32 s9, 0xf800000
	v_mov_b32_e32 v16, 0x260
.LBB29_168:                             ; =>This Inner Loop Header: Depth=1
	v_mul_hi_u32 v18, v17, s4
	v_lshrrev_b32_e32 v18, 15, v18
	v_mul_u32_u24_e32 v20, 0xadc8, v18
	v_sub_u32_e32 v17, v17, v20
	v_mul_u32_u24_e32 v18, 0xd47, v18
	v_mul_lo_u32 v17, v17, s5
	v_xor_b32_e32 v20, 0x7fffffff, v18
	v_sub_u32_e32 v21, 0, v18
	v_cmp_lt_u32_e32 vcc, v17, v18
	v_cndmask_b32_e32 v18, v21, v20, vcc
	v_add_u32_e32 v17, v18, v17
	v_mul_hi_u32 v20, v17, s4
	v_lshrrev_b32_e32 v20, 15, v20
	v_mul_u32_u24_e32 v21, 0xadc8, v20
	v_add_u32_e32 v18, -1, v17
	v_sub_u32_e32 v17, v17, v21
	v_mul_u32_u24_e32 v20, 0xd47, v20
	v_mul_lo_u32 v17, v17, s5
	v_xor_b32_e32 v21, 0x7fffffff, v20
	v_sub_u32_e32 v22, 0, v20
	v_cmp_lt_u32_e32 vcc, v17, v20
	v_cndmask_b32_e32 v20, v22, v21, vcc
	v_add_u32_e32 v17, v20, v17
	v_mul_hi_u32 v21, v17, s4
	v_add_u32_e32 v20, -1, v17
	v_lshrrev_b32_e32 v21, 15, v21
	v_cvt_f32_u32_e32 v20, v20
	v_mul_u32_u24_e32 v22, 0xadc8, v21
	v_cvt_f32_u32_e32 v18, v18
	v_sub_u32_e32 v17, v17, v22
	v_mul_u32_u24_e32 v21, 0xd47, v21
	v_mul_lo_u32 v17, v17, s5
	v_xor_b32_e32 v22, 0x7fffffff, v21
	v_sub_u32_e32 v23, 0, v21
	v_cmp_lt_u32_e32 vcc, v17, v21
	v_fma_f32 v20, v20, s8, 0
	v_cndmask_b32_e32 v21, v23, v22, vcc
	v_fma_f32 v18, v18, s8, 0
	v_mul_f32_e32 v20, v20, v20
	v_add_u32_e32 v17, v21, v17
	v_fmac_f32_e32 v20, v18, v18
	v_mul_hi_u32 v21, v17, s4
	v_mul_f32_e32 v22, 0x4f800000, v20
	v_lshrrev_b32_e32 v21, 15, v21
	v_cmp_gt_f32_e32 vcc, s9, v20
	v_cndmask_b32_e32 v20, v20, v22, vcc
	v_mul_u32_u24_e32 v22, 0xadc8, v21
	v_add_u32_e32 v18, -1, v17
	v_sqrt_f32_e32 v23, v20
	v_sub_u32_e32 v17, v17, v22
	v_mul_u32_u24_e32 v21, 0xd47, v21
	v_mul_lo_u32 v17, v17, s5
	v_xor_b32_e32 v22, 0x7fffffff, v21
	v_sub_u32_e32 v24, 0, v21
	v_cmp_lt_u32_e64 s[0:1], v17, v21
	v_cndmask_b32_e64 v21, v24, v22, s[0:1]
	v_add_u32_e32 v17, v21, v17
	v_add_u32_e32 v21, -1, v23
	v_add_u32_e32 v22, 1, v23
	v_add_u32_e32 v24, -1, v17
	v_fma_f32 v25, -v21, v23, v20
	v_fma_f32 v26, -v22, v23, v20
	v_cvt_f32_u32_e32 v24, v24
	v_cmp_ge_f32_e64 s[0:1], 0, v25
	v_cvt_f32_u32_e32 v18, v18
	v_cndmask_b32_e64 v21, v23, v21, s[0:1]
	v_cmp_lt_f32_e64 s[0:1], 0, v26
	v_cndmask_b32_e64 v21, v21, v22, s[0:1]
	v_mul_f32_e32 v22, 0x37800000, v21
	v_cndmask_b32_e32 v21, v21, v22, vcc
	v_fma_f32 v22, v24, s8, 0
	v_cmp_class_f32_e32 vcc, v20, v16
	v_fma_f32 v18, v18, s8, 0
	v_cndmask_b32_e32 v20, v21, v20, vcc
	v_mul_f32_e32 v21, v22, v22
	v_add_f32_e32 v19, 1.0, v15
	v_cmp_nge_f32_e32 vcc, 1.0, v20
	v_fmac_f32_e32 v21, v18, v18
	v_cndmask_b32_e32 v15, v19, v15, vcc
	v_mul_f32_e32 v18, 0x4f800000, v21
	v_cmp_gt_f32_e32 vcc, s9, v21
	v_cndmask_b32_e32 v18, v21, v18, vcc
	v_sqrt_f32_e32 v20, v18
	s_add_i32 s3, s3, -2
	v_add_f32_e32 v19, 1.0, v15
	s_cmp_lg_u32 s3, 0
	v_add_u32_e32 v21, -1, v20
	v_add_u32_e32 v22, 1, v20
	v_fma_f32 v23, -v21, v20, v18
	v_fma_f32 v24, -v22, v20, v18
	v_cmp_ge_f32_e64 s[0:1], 0, v23
	v_cndmask_b32_e64 v20, v20, v21, s[0:1]
	v_cmp_lt_f32_e64 s[0:1], 0, v24
	v_cndmask_b32_e64 v20, v20, v22, s[0:1]
	v_mul_f32_e32 v21, 0x37800000, v20
	v_cndmask_b32_e32 v20, v20, v21, vcc
	v_cmp_class_f32_e32 vcc, v18, v16
	v_cndmask_b32_e32 v18, v20, v18, vcc
	v_cmp_nge_f32_e32 vcc, 1.0, v18
	v_cndmask_b32_e32 v15, v19, v15, vcc
	s_cbranch_scc1 .LBB29_168
; %bb.169:
	v_add_u32_e32 v16, 0x7f456416, v4
	v_lshrrev_b32_e32 v17, 19, v16
	v_xor_b32_e32 v16, v16, v17
	v_xor_b32_e32 v16, 0xc761c23c, v16
	v_lshl_add_u32 v16, v16, 5, v16
	v_mov_b32_e32 v18, 0xaccf6200
	v_add_u32_e32 v17, 0xe9f8cc1d, v16
	v_lshl_add_u32 v16, v16, 9, v18
	v_xor_b32_e32 v16, v17, v16
	v_lshlrev_b32_e32 v17, 3, v16
	s_mov_b32 s0, 0xfd7046c5
	v_add3_u32 v16, v16, v17, s0
	v_xor_b32_sdwa v16, v16, v16 dst_sel:DWORD dst_unused:UNUSED_PAD src0_sel:DWORD src1_sel:WORD_1
	v_xor_b32_e32 v16, 0xb55a4f09, v16
	v_mul_hi_u32 v17, v16, 3
	v_sub_u32_e32 v18, v16, v17
	v_lshrrev_b32_e32 v18, 1, v18
	v_add_u32_e32 v17, v18, v17
	v_lshrrev_b32_e32 v17, 30, v17
	s_brev_b32 s0, -2
	v_mul_lo_u32 v17, v17, s0
	v_sub_u32_e32 v16, v16, v17
	v_max_u32_e32 v18, 1, v16
	s_movk_i32 s3, 0x2710
	v_mov_b32_e32 v16, 0
	s_mov_b32 s4, 0xbc8f1391
	s_mov_b32 s5, 0xbc8f
	s_brev_b32 s8, 12
	s_mov_b32 s9, 0xf800000
	v_mov_b32_e32 v17, 0x260
.LBB29_170:                             ; =>This Inner Loop Header: Depth=1
	v_mul_hi_u32 v19, v18, s4
	v_lshrrev_b32_e32 v19, 15, v19
	v_mul_u32_u24_e32 v21, 0xadc8, v19
	v_sub_u32_e32 v18, v18, v21
	v_mul_u32_u24_e32 v19, 0xd47, v19
	v_mul_lo_u32 v18, v18, s5
	v_xor_b32_e32 v21, 0x7fffffff, v19
	v_sub_u32_e32 v22, 0, v19
	v_cmp_lt_u32_e32 vcc, v18, v19
	v_cndmask_b32_e32 v19, v22, v21, vcc
	v_add_u32_e32 v18, v19, v18
	v_mul_hi_u32 v21, v18, s4
	v_lshrrev_b32_e32 v21, 15, v21
	v_mul_u32_u24_e32 v22, 0xadc8, v21
	v_add_u32_e32 v19, -1, v18
	v_sub_u32_e32 v18, v18, v22
	v_mul_u32_u24_e32 v21, 0xd47, v21
	v_mul_lo_u32 v18, v18, s5
	v_xor_b32_e32 v22, 0x7fffffff, v21
	v_sub_u32_e32 v23, 0, v21
	v_cmp_lt_u32_e32 vcc, v18, v21
	v_cndmask_b32_e32 v21, v23, v22, vcc
	v_add_u32_e32 v18, v21, v18
	v_mul_hi_u32 v22, v18, s4
	v_add_u32_e32 v21, -1, v18
	v_lshrrev_b32_e32 v22, 15, v22
	v_cvt_f32_u32_e32 v21, v21
	v_mul_u32_u24_e32 v23, 0xadc8, v22
	v_cvt_f32_u32_e32 v19, v19
	v_sub_u32_e32 v18, v18, v23
	v_mul_u32_u24_e32 v22, 0xd47, v22
	v_mul_lo_u32 v18, v18, s5
	v_xor_b32_e32 v23, 0x7fffffff, v22
	v_sub_u32_e32 v24, 0, v22
	v_cmp_lt_u32_e32 vcc, v18, v22
	v_fma_f32 v21, v21, s8, 0
	v_cndmask_b32_e32 v22, v24, v23, vcc
	v_fma_f32 v19, v19, s8, 0
	v_mul_f32_e32 v21, v21, v21
	v_add_u32_e32 v18, v22, v18
	v_fmac_f32_e32 v21, v19, v19
	v_mul_hi_u32 v22, v18, s4
	v_mul_f32_e32 v23, 0x4f800000, v21
	v_lshrrev_b32_e32 v22, 15, v22
	v_cmp_gt_f32_e32 vcc, s9, v21
	v_cndmask_b32_e32 v21, v21, v23, vcc
	v_mul_u32_u24_e32 v23, 0xadc8, v22
	v_add_u32_e32 v19, -1, v18
	v_sqrt_f32_e32 v24, v21
	v_sub_u32_e32 v18, v18, v23
	v_mul_u32_u24_e32 v22, 0xd47, v22
	v_mul_lo_u32 v18, v18, s5
	v_xor_b32_e32 v23, 0x7fffffff, v22
	v_sub_u32_e32 v25, 0, v22
	v_cmp_lt_u32_e64 s[0:1], v18, v22
	v_cndmask_b32_e64 v22, v25, v23, s[0:1]
	v_add_u32_e32 v18, v22, v18
	v_add_u32_e32 v22, -1, v24
	v_add_u32_e32 v23, 1, v24
	v_add_u32_e32 v25, -1, v18
	v_fma_f32 v26, -v22, v24, v21
	v_fma_f32 v27, -v23, v24, v21
	v_cvt_f32_u32_e32 v25, v25
	v_cmp_ge_f32_e64 s[0:1], 0, v26
	v_cvt_f32_u32_e32 v19, v19
	v_cndmask_b32_e64 v22, v24, v22, s[0:1]
	v_cmp_lt_f32_e64 s[0:1], 0, v27
	v_cndmask_b32_e64 v22, v22, v23, s[0:1]
	v_mul_f32_e32 v23, 0x37800000, v22
	v_cndmask_b32_e32 v22, v22, v23, vcc
	v_fma_f32 v23, v25, s8, 0
	v_cmp_class_f32_e32 vcc, v21, v17
	v_fma_f32 v19, v19, s8, 0
	v_cndmask_b32_e32 v21, v22, v21, vcc
	v_mul_f32_e32 v22, v23, v23
	v_add_f32_e32 v20, 1.0, v16
	v_cmp_nge_f32_e32 vcc, 1.0, v21
	v_fmac_f32_e32 v22, v19, v19
	v_cndmask_b32_e32 v16, v20, v16, vcc
	v_mul_f32_e32 v19, 0x4f800000, v22
	v_cmp_gt_f32_e32 vcc, s9, v22
	v_cndmask_b32_e32 v19, v22, v19, vcc
	v_sqrt_f32_e32 v21, v19
	s_add_i32 s3, s3, -2
	v_add_f32_e32 v20, 1.0, v16
	s_cmp_lg_u32 s3, 0
	v_add_u32_e32 v22, -1, v21
	v_add_u32_e32 v23, 1, v21
	v_fma_f32 v24, -v22, v21, v19
	v_fma_f32 v25, -v23, v21, v19
	v_cmp_ge_f32_e64 s[0:1], 0, v24
	v_cndmask_b32_e64 v21, v21, v22, s[0:1]
	v_cmp_lt_f32_e64 s[0:1], 0, v25
	v_cndmask_b32_e64 v21, v21, v23, s[0:1]
	v_mul_f32_e32 v22, 0x37800000, v21
	v_cndmask_b32_e32 v21, v21, v22, vcc
	v_cmp_class_f32_e32 vcc, v19, v17
	v_cndmask_b32_e32 v19, v21, v19, vcc
	v_cmp_nge_f32_e32 vcc, 1.0, v19
	v_cndmask_b32_e32 v16, v20, v16, vcc
	s_cbranch_scc1 .LBB29_170
; %bb.171:
	v_add_u32_e32 v4, 0x7f4d6496, v4
	v_lshrrev_b32_e32 v17, 19, v4
	v_xor_b32_e32 v4, v4, v17
	v_xor_b32_e32 v4, 0xc761c23c, v4
	v_lshl_add_u32 v4, v4, 5, v4
	v_mov_b32_e32 v18, 0xaccf6200
	v_add_u32_e32 v17, 0xe9f8cc1d, v4
	v_lshl_add_u32 v4, v4, 9, v18
	v_xor_b32_e32 v4, v17, v4
	v_lshlrev_b32_e32 v17, 3, v4
	s_mov_b32 s0, 0xfd7046c5
	v_add3_u32 v4, v4, v17, s0
	v_xor_b32_sdwa v4, v4, v4 dst_sel:DWORD dst_unused:UNUSED_PAD src0_sel:DWORD src1_sel:WORD_1
	v_xor_b32_e32 v4, 0xb55a4f09, v4
	v_mul_hi_u32 v17, v4, 3
	v_sub_u32_e32 v18, v4, v17
	v_lshrrev_b32_e32 v18, 1, v18
	v_add_u32_e32 v17, v18, v17
	v_lshrrev_b32_e32 v17, 30, v17
	s_brev_b32 s0, -2
	v_mul_lo_u32 v17, v17, s0
	v_sub_u32_e32 v4, v4, v17
	v_max_u32_e32 v18, 1, v4
	s_movk_i32 s3, 0x2710
	v_mov_b32_e32 v4, 0
	s_mov_b32 s4, 0xbc8f1391
	s_mov_b32 s5, 0xbc8f
	s_brev_b32 s8, 12
	s_mov_b32 s9, 0xf800000
	v_mov_b32_e32 v17, 0x260
.LBB29_172:                             ; =>This Inner Loop Header: Depth=1
	v_mul_hi_u32 v19, v18, s4
	v_lshrrev_b32_e32 v19, 15, v19
	v_mul_u32_u24_e32 v21, 0xadc8, v19
	v_sub_u32_e32 v18, v18, v21
	v_mul_u32_u24_e32 v19, 0xd47, v19
	v_mul_lo_u32 v18, v18, s5
	v_xor_b32_e32 v21, 0x7fffffff, v19
	v_sub_u32_e32 v22, 0, v19
	v_cmp_lt_u32_e32 vcc, v18, v19
	v_cndmask_b32_e32 v19, v22, v21, vcc
	v_add_u32_e32 v18, v19, v18
	v_mul_hi_u32 v21, v18, s4
	v_lshrrev_b32_e32 v21, 15, v21
	v_mul_u32_u24_e32 v22, 0xadc8, v21
	v_add_u32_e32 v19, -1, v18
	v_sub_u32_e32 v18, v18, v22
	v_mul_u32_u24_e32 v21, 0xd47, v21
	v_mul_lo_u32 v18, v18, s5
	v_xor_b32_e32 v22, 0x7fffffff, v21
	v_sub_u32_e32 v23, 0, v21
	v_cmp_lt_u32_e32 vcc, v18, v21
	v_cndmask_b32_e32 v21, v23, v22, vcc
	v_add_u32_e32 v18, v21, v18
	v_mul_hi_u32 v22, v18, s4
	v_add_u32_e32 v21, -1, v18
	v_lshrrev_b32_e32 v22, 15, v22
	v_cvt_f32_u32_e32 v21, v21
	v_mul_u32_u24_e32 v23, 0xadc8, v22
	v_cvt_f32_u32_e32 v19, v19
	v_sub_u32_e32 v18, v18, v23
	v_mul_u32_u24_e32 v22, 0xd47, v22
	v_mul_lo_u32 v18, v18, s5
	v_xor_b32_e32 v23, 0x7fffffff, v22
	v_sub_u32_e32 v24, 0, v22
	v_cmp_lt_u32_e32 vcc, v18, v22
	v_fma_f32 v21, v21, s8, 0
	v_cndmask_b32_e32 v22, v24, v23, vcc
	v_fma_f32 v19, v19, s8, 0
	v_mul_f32_e32 v21, v21, v21
	v_add_u32_e32 v18, v22, v18
	v_fmac_f32_e32 v21, v19, v19
	v_mul_hi_u32 v22, v18, s4
	v_mul_f32_e32 v23, 0x4f800000, v21
	v_lshrrev_b32_e32 v22, 15, v22
	v_cmp_gt_f32_e32 vcc, s9, v21
	v_cndmask_b32_e32 v21, v21, v23, vcc
	v_mul_u32_u24_e32 v23, 0xadc8, v22
	v_add_u32_e32 v19, -1, v18
	v_sqrt_f32_e32 v24, v21
	v_sub_u32_e32 v18, v18, v23
	v_mul_u32_u24_e32 v22, 0xd47, v22
	v_mul_lo_u32 v18, v18, s5
	v_xor_b32_e32 v23, 0x7fffffff, v22
	v_sub_u32_e32 v25, 0, v22
	v_cmp_lt_u32_e64 s[0:1], v18, v22
	v_cndmask_b32_e64 v22, v25, v23, s[0:1]
	v_add_u32_e32 v18, v22, v18
	v_add_u32_e32 v22, -1, v24
	v_add_u32_e32 v23, 1, v24
	v_add_u32_e32 v25, -1, v18
	v_fma_f32 v26, -v22, v24, v21
	v_fma_f32 v27, -v23, v24, v21
	v_cvt_f32_u32_e32 v25, v25
	v_cmp_ge_f32_e64 s[0:1], 0, v26
	v_cvt_f32_u32_e32 v19, v19
	v_cndmask_b32_e64 v22, v24, v22, s[0:1]
	v_cmp_lt_f32_e64 s[0:1], 0, v27
	v_cndmask_b32_e64 v22, v22, v23, s[0:1]
	v_mul_f32_e32 v23, 0x37800000, v22
	v_cndmask_b32_e32 v22, v22, v23, vcc
	v_fma_f32 v23, v25, s8, 0
	v_cmp_class_f32_e32 vcc, v21, v17
	v_fma_f32 v19, v19, s8, 0
	v_cndmask_b32_e32 v21, v22, v21, vcc
	v_mul_f32_e32 v22, v23, v23
	v_add_f32_e32 v20, 1.0, v4
	v_cmp_nge_f32_e32 vcc, 1.0, v21
	v_fmac_f32_e32 v22, v19, v19
	v_cndmask_b32_e32 v4, v20, v4, vcc
	v_mul_f32_e32 v19, 0x4f800000, v22
	v_cmp_gt_f32_e32 vcc, s9, v22
	v_cndmask_b32_e32 v19, v22, v19, vcc
	v_sqrt_f32_e32 v21, v19
	s_add_i32 s3, s3, -2
	v_add_f32_e32 v20, 1.0, v4
	s_cmp_lg_u32 s3, 0
	v_add_u32_e32 v22, -1, v21
	v_add_u32_e32 v23, 1, v21
	v_fma_f32 v24, -v22, v21, v19
	v_fma_f32 v25, -v23, v21, v19
	v_cmp_ge_f32_e64 s[0:1], 0, v24
	v_cndmask_b32_e64 v21, v21, v22, s[0:1]
	v_cmp_lt_f32_e64 s[0:1], 0, v25
	v_cndmask_b32_e64 v21, v21, v23, s[0:1]
	v_mul_f32_e32 v22, 0x37800000, v21
	v_cndmask_b32_e32 v21, v21, v22, vcc
	v_cmp_class_f32_e32 vcc, v19, v17
	v_cndmask_b32_e32 v19, v21, v19, vcc
	v_cmp_nge_f32_e32 vcc, 1.0, v19
	v_cndmask_b32_e32 v4, v20, v4, vcc
	s_cbranch_scc1 .LBB29_172
; %bb.173:
	v_mul_f32_e32 v10, 4.0, v10
	s_mov_b32 s0, 0x461c4000
	v_div_scale_f32 v17, s[4:5], s0, s0, v10
	v_rcp_f32_e32 v18, v17
	v_mul_f32_e32 v9, 4.0, v9
	v_mul_f32_e32 v8, 4.0, v8
	;; [unrolled: 1-line block ×3, first 2 shown]
	v_fma_f32 v19, -v17, v18, 1.0
	v_fmac_f32_e32 v18, v19, v18
	v_div_scale_f32 v19, vcc, v10, s0, v10
	v_mul_f32_e32 v20, v19, v18
	v_fma_f32 v21, -v17, v20, v19
	v_fmac_f32_e32 v20, v21, v18
	v_fma_f32 v17, -v17, v20, v19
	v_div_scale_f32 v19, s[4:5], s0, s0, v9
	v_rcp_f32_e32 v21, v19
	v_div_fmas_f32 v17, v17, v18, v20
	v_div_fixup_f32 v10, v17, s0, v10
	v_mul_f32_e32 v6, 4.0, v6
	v_fma_f32 v17, -v19, v21, 1.0
	v_fmac_f32_e32 v21, v17, v21
	v_div_scale_f32 v17, vcc, v9, s0, v9
	v_mul_f32_e32 v18, v17, v21
	v_fma_f32 v20, -v19, v18, v17
	v_fmac_f32_e32 v18, v20, v21
	v_fma_f32 v17, -v19, v18, v17
	v_div_scale_f32 v19, s[4:5], s0, s0, v8
	v_rcp_f32_e32 v20, v19
	v_div_fmas_f32 v17, v17, v21, v18
	v_div_fixup_f32 v9, v17, s0, v9
	v_mul_f32_e32 v5, 4.0, v5
	;; [unrolled: 12-line block ×12, first 2 shown]
	v_fma_f32 v17, -v19, v20, 1.0
	v_fmac_f32_e32 v20, v17, v20
	v_div_scale_f32 v17, vcc, v14, s0, v14
	v_mul_f32_e32 v18, v17, v20
	v_fma_f32 v21, -v19, v18, v17
	v_fmac_f32_e32 v18, v21, v20
	v_fma_f32 v17, -v19, v18, v17
	v_div_scale_f32 v19, s[4:5], s0, s0, v15
	v_rcp_f32_e32 v21, v19
	v_div_fmas_f32 v17, v17, v20, v18
	v_div_fixup_f32 v14, v17, s0, v14
	v_add_f32_e32 v1, v1, v2
	v_fma_f32 v17, -v19, v21, 1.0
	v_fmac_f32_e32 v21, v17, v21
	v_div_scale_f32 v17, vcc, v15, s0, v15
	v_mul_f32_e32 v18, v17, v21
	v_fma_f32 v20, -v19, v18, v17
	v_fmac_f32_e32 v18, v20, v21
	v_fma_f32 v17, -v19, v18, v17
	v_div_scale_f32 v19, s[4:5], s0, s0, v16
	v_rcp_f32_e32 v20, v19
	v_div_fmas_f32 v17, v17, v21, v18
	v_div_fixup_f32 v15, v17, s0, v15
	v_add_f32_e32 v1, v1, v3
	v_fma_f32 v17, -v19, v20, 1.0
	v_fmac_f32_e32 v20, v17, v20
	v_div_scale_f32 v17, vcc, v16, s0, v16
	v_mul_f32_e32 v18, v17, v20
	v_fma_f32 v21, -v19, v18, v17
	v_fmac_f32_e32 v18, v21, v20
	v_fma_f32 v17, -v19, v18, v17
	v_div_scale_f32 v19, s[4:5], s0, s0, v4
	v_rcp_f32_e32 v21, v19
	v_add_f32_e32 v1, v1, v5
	v_add_f32_e32 v1, v1, v6
	;; [unrolled: 1-line block ×3, first 2 shown]
	v_div_fmas_f32 v17, v17, v20, v18
	v_add_f32_e32 v1, v1, v8
	v_div_fixup_f32 v16, v17, s0, v16
	v_fma_f32 v17, -v19, v21, 1.0
	v_add_f32_e32 v1, v1, v9
	v_fmac_f32_e32 v21, v17, v21
	v_div_scale_f32 v17, vcc, v4, s0, v4
	v_add_f32_e32 v1, v1, v10
	v_mul_f32_e32 v18, v17, v21
	v_add_f32_e32 v1, v1, v11
	v_fma_f32 v20, -v19, v18, v17
	v_add_f32_e32 v1, v1, v12
	v_fmac_f32_e32 v18, v20, v21
	v_add_f32_e32 v1, v1, v13
	v_fma_f32 v17, -v19, v18, v17
	v_add_f32_e32 v1, v1, v14
	v_div_fmas_f32 v17, v17, v21, v18
	v_add_f32_e32 v1, v1, v15
	v_div_fixup_f32 v4, v17, s0, v4
	v_add_f32_e32 v1, v1, v16
	v_add_f32_e32 v2, v1, v4
	v_mbcnt_lo_u32_b32 v1, -1, 0
	v_mbcnt_hi_u32_b32 v1, -1, v1
	v_add_f32_dpp v2, v2, v2 quad_perm:[1,0,3,2] row_mask:0xf bank_mask:0xf bound_ctrl:1
	v_lshlrev_b32_e32 v3, 2, v1
	v_or_b32_e32 v4, 0xfc, v3
	v_add_f32_dpp v2, v2, v2 quad_perm:[2,3,0,1] row_mask:0xf bank_mask:0xf bound_ctrl:1
	v_cmp_eq_u32_e32 vcc, 0, v1
	s_nop 0
	v_add_f32_dpp v2, v2, v2 row_ror:4 row_mask:0xf bank_mask:0xf bound_ctrl:1
	s_nop 1
	v_add_f32_dpp v2, v2, v2 row_ror:8 row_mask:0xf bank_mask:0xf bound_ctrl:1
	s_nop 1
	v_add_f32_dpp v2, v2, v2 row_bcast:15 row_mask:0xf bank_mask:0xf bound_ctrl:1
	s_nop 1
	v_add_f32_dpp v2, v2, v2 row_bcast:31 row_mask:0xf bank_mask:0xf bound_ctrl:1
	ds_bpermute_b32 v2, v4, v2
	s_and_saveexec_b64 s[0:1], vcc
	s_cbranch_execz .LBB29_175
; %bb.174:
	v_lshrrev_b32_e32 v4, 4, v0
	v_and_b32_e32 v4, 0xffffffc, v4
	s_waitcnt lgkmcnt(0)
	ds_write_b32 v4, v2
.LBB29_175:
	s_or_b64 exec, exec, s[0:1]
	v_cmp_gt_u32_e32 vcc, 64, v0
	s_waitcnt lgkmcnt(0)
	s_barrier
	s_and_saveexec_b64 s[0:1], vcc
	s_cbranch_execz .LBB29_177
; %bb.176:
	v_and_b32_e32 v1, 1, v1
	v_lshlrev_b32_e32 v1, 2, v1
	ds_read_b32 v1, v1
	v_or_b32_e32 v2, 4, v3
	s_waitcnt lgkmcnt(0)
	ds_bpermute_b32 v2, v2, v1
	s_waitcnt lgkmcnt(0)
	v_add_f32_e32 v2, v1, v2
.LBB29_177:
	s_or_b64 exec, exec, s[0:1]
	s_branch .LBB29_248
.LBB29_178:
                                        ; implicit-def: $vgpr2
	s_cbranch_execz .LBB29_248
; %bb.179:
	s_sub_i32 s39, s68, s2
	v_cmp_gt_u32_e32 vcc, s39, v0
                                        ; implicit-def: $vgpr2_vgpr3_vgpr4_vgpr5_vgpr6_vgpr7_vgpr8_vgpr9_vgpr10_vgpr11_vgpr12_vgpr13_vgpr14_vgpr15_vgpr16_vgpr17
	s_and_saveexec_b64 s[2:3], vcc
	s_cbranch_execz .LBB29_183
; %bb.180:
	v_add_u32_e32 v1, s38, v0
	v_lshlrev_b32_e32 v2, 12, v1
	s_mov_b32 s0, 0x7ed55d16
	v_add3_u32 v1, v1, v2, s0
	v_lshrrev_b32_e32 v2, 19, v1
	v_xor_b32_e32 v1, v1, v2
	v_xor_b32_e32 v1, 0xc761c23c, v1
	v_lshl_add_u32 v1, v1, 5, v1
	v_mov_b32_e32 v3, 0xaccf6200
	v_add_u32_e32 v2, 0xe9f8cc1d, v1
	v_lshl_add_u32 v1, v1, 9, v3
	v_xor_b32_e32 v1, v2, v1
	v_lshlrev_b32_e32 v2, 3, v1
	s_mov_b32 s0, 0xfd7046c5
	v_add3_u32 v1, v1, v2, s0
	v_xor_b32_sdwa v1, v1, v1 dst_sel:DWORD dst_unused:UNUSED_PAD src0_sel:DWORD src1_sel:WORD_1
	v_xor_b32_e32 v1, 0xb55a4f09, v1
	v_mul_hi_u32 v2, v1, 3
	v_sub_u32_e32 v3, v1, v2
	v_lshrrev_b32_e32 v3, 1, v3
	v_add_u32_e32 v2, v3, v2
	v_lshrrev_b32_e32 v2, 30, v2
	s_brev_b32 s0, -2
	v_mul_lo_u32 v2, v2, s0
	v_sub_u32_e32 v1, v1, v2
	v_max_u32_e32 v3, 1, v1
	s_movk_i32 s4, 0x2710
	v_mov_b32_e32 v2, 0
	s_mov_b32 s5, 0xbc8f1391
	s_mov_b32 s8, 0xbc8f
	s_brev_b32 s9, 12
	s_mov_b32 s10, 0xf800000
	v_mov_b32_e32 v1, 0x260
.LBB29_181:                             ; =>This Inner Loop Header: Depth=1
	v_mul_hi_u32 v4, v3, s5
	v_lshrrev_b32_e32 v4, 15, v4
	v_mul_u32_u24_e32 v6, 0xadc8, v4
	v_sub_u32_e32 v3, v3, v6
	v_mul_u32_u24_e32 v4, 0xd47, v4
	v_mul_lo_u32 v3, v3, s8
	v_xor_b32_e32 v6, 0x7fffffff, v4
	v_sub_u32_e32 v7, 0, v4
	v_cmp_lt_u32_e32 vcc, v3, v4
	v_cndmask_b32_e32 v4, v7, v6, vcc
	v_add_u32_e32 v3, v4, v3
	v_mul_hi_u32 v6, v3, s5
	v_lshrrev_b32_e32 v6, 15, v6
	v_mul_u32_u24_e32 v7, 0xadc8, v6
	v_add_u32_e32 v4, -1, v3
	v_sub_u32_e32 v3, v3, v7
	v_mul_u32_u24_e32 v6, 0xd47, v6
	v_mul_lo_u32 v3, v3, s8
	v_xor_b32_e32 v7, 0x7fffffff, v6
	v_sub_u32_e32 v8, 0, v6
	v_cmp_lt_u32_e32 vcc, v3, v6
	v_cndmask_b32_e32 v6, v8, v7, vcc
	v_add_u32_e32 v3, v6, v3
	v_mul_hi_u32 v7, v3, s5
	v_add_u32_e32 v6, -1, v3
	v_lshrrev_b32_e32 v7, 15, v7
	v_cvt_f32_u32_e32 v6, v6
	v_mul_u32_u24_e32 v8, 0xadc8, v7
	v_cvt_f32_u32_e32 v4, v4
	v_sub_u32_e32 v3, v3, v8
	v_mul_u32_u24_e32 v7, 0xd47, v7
	v_mul_lo_u32 v3, v3, s8
	v_xor_b32_e32 v8, 0x7fffffff, v7
	v_sub_u32_e32 v9, 0, v7
	v_cmp_lt_u32_e32 vcc, v3, v7
	v_fma_f32 v6, v6, s9, 0
	v_cndmask_b32_e32 v7, v9, v8, vcc
	v_fma_f32 v4, v4, s9, 0
	v_mul_f32_e32 v6, v6, v6
	v_add_u32_e32 v3, v7, v3
	v_fmac_f32_e32 v6, v4, v4
	v_mul_hi_u32 v7, v3, s5
	v_mul_f32_e32 v8, 0x4f800000, v6
	v_lshrrev_b32_e32 v7, 15, v7
	v_cmp_gt_f32_e32 vcc, s10, v6
	v_cndmask_b32_e32 v6, v6, v8, vcc
	v_mul_u32_u24_e32 v8, 0xadc8, v7
	v_add_u32_e32 v4, -1, v3
	v_sqrt_f32_e32 v9, v6
	v_sub_u32_e32 v3, v3, v8
	v_mul_u32_u24_e32 v7, 0xd47, v7
	v_mul_lo_u32 v3, v3, s8
	v_xor_b32_e32 v8, 0x7fffffff, v7
	v_sub_u32_e32 v10, 0, v7
	v_cmp_lt_u32_e64 s[0:1], v3, v7
	v_cndmask_b32_e64 v7, v10, v8, s[0:1]
	v_add_u32_e32 v3, v7, v3
	v_add_u32_e32 v7, -1, v9
	v_add_u32_e32 v8, 1, v9
	v_add_u32_e32 v10, -1, v3
	v_fma_f32 v11, -v7, v9, v6
	v_fma_f32 v12, -v8, v9, v6
	v_cvt_f32_u32_e32 v10, v10
	v_cmp_ge_f32_e64 s[0:1], 0, v11
	v_cvt_f32_u32_e32 v4, v4
	v_cndmask_b32_e64 v7, v9, v7, s[0:1]
	v_cmp_lt_f32_e64 s[0:1], 0, v12
	v_cndmask_b32_e64 v7, v7, v8, s[0:1]
	v_mul_f32_e32 v8, 0x37800000, v7
	v_cndmask_b32_e32 v7, v7, v8, vcc
	v_fma_f32 v8, v10, s9, 0
	v_cmp_class_f32_e32 vcc, v6, v1
	v_fma_f32 v4, v4, s9, 0
	v_cndmask_b32_e32 v6, v7, v6, vcc
	v_mul_f32_e32 v7, v8, v8
	v_add_f32_e32 v5, 1.0, v2
	v_cmp_nge_f32_e32 vcc, 1.0, v6
	v_fmac_f32_e32 v7, v4, v4
	v_cndmask_b32_e32 v2, v5, v2, vcc
	v_mul_f32_e32 v4, 0x4f800000, v7
	v_cmp_gt_f32_e32 vcc, s10, v7
	v_cndmask_b32_e32 v4, v7, v4, vcc
	v_sqrt_f32_e32 v6, v4
	s_add_i32 s4, s4, -2
	v_add_f32_e32 v5, 1.0, v2
	s_cmp_lg_u32 s4, 0
	v_add_u32_e32 v7, -1, v6
	v_add_u32_e32 v8, 1, v6
	v_fma_f32 v9, -v7, v6, v4
	v_fma_f32 v10, -v8, v6, v4
	v_cmp_ge_f32_e64 s[0:1], 0, v9
	v_cndmask_b32_e64 v6, v6, v7, s[0:1]
	v_cmp_lt_f32_e64 s[0:1], 0, v10
	v_cndmask_b32_e64 v6, v6, v8, s[0:1]
	v_mul_f32_e32 v7, 0x37800000, v6
	v_cndmask_b32_e32 v6, v6, v7, vcc
	v_cmp_class_f32_e32 vcc, v4, v1
	v_cndmask_b32_e32 v4, v6, v4, vcc
	v_cmp_nge_f32_e32 vcc, 1.0, v4
	v_cndmask_b32_e32 v2, v5, v2, vcc
	s_cbranch_scc1 .LBB29_181
; %bb.182:
	v_mul_f32_e32 v1, 4.0, v2
	s_mov_b32 s4, 0x461c4000
	v_div_scale_f32 v2, s[0:1], s4, s4, v1
	v_rcp_f32_e32 v3, v2
	v_fma_f32 v4, -v2, v3, 1.0
	v_fmac_f32_e32 v3, v4, v3
	v_div_scale_f32 v4, vcc, v1, s4, v1
	v_mul_f32_e32 v5, v4, v3
	v_fma_f32 v6, -v2, v5, v4
	v_fmac_f32_e32 v5, v6, v3
	v_fma_f32 v2, -v2, v5, v4
	v_div_fmas_f32 v2, v2, v3, v5
	v_div_fixup_f32 v2, v2, s4, v1
.LBB29_183:
	s_or_b64 exec, exec, s[2:3]
	v_add_u32_e32 v1, 0x80, v0
	v_cmp_gt_u32_e64 s[0:1], s39, v1
	s_and_saveexec_b64 s[4:5], s[0:1]
	s_cbranch_execz .LBB29_187
; %bb.184:
	v_add_u32_e32 v1, s38, v1
	v_lshlrev_b32_e32 v3, 12, v1
	s_mov_b32 s2, 0x7ed55d16
	v_add3_u32 v1, v1, v3, s2
	v_lshrrev_b32_e32 v3, 19, v1
	v_xor_b32_e32 v1, v1, v3
	v_xor_b32_e32 v1, 0xc761c23c, v1
	v_lshl_add_u32 v1, v1, 5, v1
	v_mov_b32_e32 v18, 0xaccf6200
	v_add_u32_e32 v3, 0xe9f8cc1d, v1
	v_lshl_add_u32 v1, v1, 9, v18
	v_xor_b32_e32 v1, v3, v1
	v_lshlrev_b32_e32 v3, 3, v1
	s_mov_b32 s2, 0xfd7046c5
	v_add3_u32 v1, v1, v3, s2
	v_xor_b32_sdwa v1, v1, v1 dst_sel:DWORD dst_unused:UNUSED_PAD src0_sel:DWORD src1_sel:WORD_1
	v_xor_b32_e32 v1, 0xb55a4f09, v1
	v_mul_hi_u32 v3, v1, 3
	v_sub_u32_e32 v18, v1, v3
	v_lshrrev_b32_e32 v18, 1, v18
	v_add_u32_e32 v3, v18, v3
	v_lshrrev_b32_e32 v3, 30, v3
	s_brev_b32 s2, -2
	v_mul_lo_u32 v3, v3, s2
	v_sub_u32_e32 v1, v1, v3
	v_max_u32_e32 v18, 1, v1
	s_movk_i32 s8, 0x2710
	v_mov_b32_e32 v3, 0
	s_mov_b32 s9, 0xbc8f1391
	s_mov_b32 s10, 0xbc8f
	s_brev_b32 s11, 12
	s_mov_b32 s12, 0xf800000
	v_mov_b32_e32 v1, 0x260
.LBB29_185:                             ; =>This Inner Loop Header: Depth=1
	v_mul_hi_u32 v19, v18, s9
	v_lshrrev_b32_e32 v19, 15, v19
	v_mul_u32_u24_e32 v21, 0xadc8, v19
	v_sub_u32_e32 v18, v18, v21
	v_mul_u32_u24_e32 v19, 0xd47, v19
	v_mul_lo_u32 v18, v18, s10
	v_xor_b32_e32 v21, 0x7fffffff, v19
	v_sub_u32_e32 v22, 0, v19
	v_cmp_lt_u32_e32 vcc, v18, v19
	v_cndmask_b32_e32 v19, v22, v21, vcc
	v_add_u32_e32 v18, v19, v18
	v_mul_hi_u32 v21, v18, s9
	v_lshrrev_b32_e32 v21, 15, v21
	v_mul_u32_u24_e32 v22, 0xadc8, v21
	v_add_u32_e32 v19, -1, v18
	v_sub_u32_e32 v18, v18, v22
	v_mul_u32_u24_e32 v21, 0xd47, v21
	v_mul_lo_u32 v18, v18, s10
	v_xor_b32_e32 v22, 0x7fffffff, v21
	v_sub_u32_e32 v23, 0, v21
	v_cmp_lt_u32_e32 vcc, v18, v21
	v_cndmask_b32_e32 v21, v23, v22, vcc
	v_add_u32_e32 v18, v21, v18
	v_mul_hi_u32 v22, v18, s9
	v_add_u32_e32 v21, -1, v18
	v_lshrrev_b32_e32 v22, 15, v22
	v_cvt_f32_u32_e32 v21, v21
	v_mul_u32_u24_e32 v23, 0xadc8, v22
	v_cvt_f32_u32_e32 v19, v19
	v_sub_u32_e32 v18, v18, v23
	v_mul_u32_u24_e32 v22, 0xd47, v22
	v_mul_lo_u32 v18, v18, s10
	v_xor_b32_e32 v23, 0x7fffffff, v22
	v_sub_u32_e32 v24, 0, v22
	v_cmp_lt_u32_e32 vcc, v18, v22
	v_fma_f32 v21, v21, s11, 0
	v_cndmask_b32_e32 v22, v24, v23, vcc
	v_fma_f32 v19, v19, s11, 0
	v_mul_f32_e32 v21, v21, v21
	v_add_u32_e32 v18, v22, v18
	v_fmac_f32_e32 v21, v19, v19
	v_mul_hi_u32 v22, v18, s9
	v_mul_f32_e32 v23, 0x4f800000, v21
	v_lshrrev_b32_e32 v22, 15, v22
	v_cmp_gt_f32_e32 vcc, s12, v21
	v_cndmask_b32_e32 v21, v21, v23, vcc
	v_mul_u32_u24_e32 v23, 0xadc8, v22
	v_add_u32_e32 v19, -1, v18
	v_sqrt_f32_e32 v24, v21
	v_sub_u32_e32 v18, v18, v23
	v_mul_u32_u24_e32 v22, 0xd47, v22
	v_mul_lo_u32 v18, v18, s10
	v_xor_b32_e32 v23, 0x7fffffff, v22
	v_sub_u32_e32 v25, 0, v22
	v_cmp_lt_u32_e64 s[2:3], v18, v22
	v_cndmask_b32_e64 v22, v25, v23, s[2:3]
	v_add_u32_e32 v18, v22, v18
	v_add_u32_e32 v22, -1, v24
	v_add_u32_e32 v23, 1, v24
	v_add_u32_e32 v25, -1, v18
	v_fma_f32 v26, -v22, v24, v21
	v_fma_f32 v27, -v23, v24, v21
	v_cvt_f32_u32_e32 v25, v25
	v_cmp_ge_f32_e64 s[2:3], 0, v26
	v_cvt_f32_u32_e32 v19, v19
	v_cndmask_b32_e64 v22, v24, v22, s[2:3]
	v_cmp_lt_f32_e64 s[2:3], 0, v27
	v_cndmask_b32_e64 v22, v22, v23, s[2:3]
	v_mul_f32_e32 v23, 0x37800000, v22
	v_cndmask_b32_e32 v22, v22, v23, vcc
	v_fma_f32 v23, v25, s11, 0
	v_cmp_class_f32_e32 vcc, v21, v1
	v_fma_f32 v19, v19, s11, 0
	v_cndmask_b32_e32 v21, v22, v21, vcc
	v_mul_f32_e32 v22, v23, v23
	v_add_f32_e32 v20, 1.0, v3
	v_cmp_nge_f32_e32 vcc, 1.0, v21
	v_fmac_f32_e32 v22, v19, v19
	v_cndmask_b32_e32 v3, v20, v3, vcc
	v_mul_f32_e32 v19, 0x4f800000, v22
	v_cmp_gt_f32_e32 vcc, s12, v22
	v_cndmask_b32_e32 v19, v22, v19, vcc
	v_sqrt_f32_e32 v21, v19
	s_add_i32 s8, s8, -2
	v_add_f32_e32 v20, 1.0, v3
	s_cmp_lg_u32 s8, 0
	v_add_u32_e32 v22, -1, v21
	v_add_u32_e32 v23, 1, v21
	v_fma_f32 v24, -v22, v21, v19
	v_fma_f32 v25, -v23, v21, v19
	v_cmp_ge_f32_e64 s[2:3], 0, v24
	v_cndmask_b32_e64 v21, v21, v22, s[2:3]
	v_cmp_lt_f32_e64 s[2:3], 0, v25
	v_cndmask_b32_e64 v21, v21, v23, s[2:3]
	v_mul_f32_e32 v22, 0x37800000, v21
	v_cndmask_b32_e32 v21, v21, v22, vcc
	v_cmp_class_f32_e32 vcc, v19, v1
	v_cndmask_b32_e32 v19, v21, v19, vcc
	v_cmp_nge_f32_e32 vcc, 1.0, v19
	v_cndmask_b32_e32 v3, v20, v3, vcc
	s_cbranch_scc1 .LBB29_185
; %bb.186:
	v_mul_f32_e32 v1, 4.0, v3
	s_mov_b32 s8, 0x461c4000
	v_div_scale_f32 v3, s[2:3], s8, s8, v1
	v_rcp_f32_e32 v18, v3
	v_fma_f32 v19, -v3, v18, 1.0
	v_fmac_f32_e32 v18, v19, v18
	v_div_scale_f32 v19, vcc, v1, s8, v1
	v_mul_f32_e32 v20, v19, v18
	v_fma_f32 v21, -v3, v20, v19
	v_fmac_f32_e32 v20, v21, v18
	v_fma_f32 v3, -v3, v20, v19
	v_div_fmas_f32 v3, v3, v18, v20
	v_div_fixup_f32 v3, v3, s8, v1
.LBB29_187:
	s_or_b64 exec, exec, s[4:5]
	v_add_u32_e32 v1, 0x100, v0
	v_cmp_gt_u32_e64 s[2:3], s39, v1
	s_and_saveexec_b64 s[8:9], s[2:3]
	s_cbranch_execz .LBB29_191
; %bb.188:
	v_add_u32_e32 v1, s38, v1
	v_lshlrev_b32_e32 v4, 12, v1
	s_mov_b32 s4, 0x7ed55d16
	v_add3_u32 v1, v1, v4, s4
	v_lshrrev_b32_e32 v4, 19, v1
	v_xor_b32_e32 v1, v1, v4
	v_xor_b32_e32 v1, 0xc761c23c, v1
	v_lshl_add_u32 v1, v1, 5, v1
	v_mov_b32_e32 v18, 0xaccf6200
	v_add_u32_e32 v4, 0xe9f8cc1d, v1
	v_lshl_add_u32 v1, v1, 9, v18
	v_xor_b32_e32 v1, v4, v1
	v_lshlrev_b32_e32 v4, 3, v1
	s_mov_b32 s4, 0xfd7046c5
	v_add3_u32 v1, v1, v4, s4
	v_xor_b32_sdwa v1, v1, v1 dst_sel:DWORD dst_unused:UNUSED_PAD src0_sel:DWORD src1_sel:WORD_1
	v_xor_b32_e32 v1, 0xb55a4f09, v1
	v_mul_hi_u32 v4, v1, 3
	v_sub_u32_e32 v18, v1, v4
	v_lshrrev_b32_e32 v18, 1, v18
	v_add_u32_e32 v4, v18, v4
	v_lshrrev_b32_e32 v4, 30, v4
	s_brev_b32 s4, -2
	v_mul_lo_u32 v4, v4, s4
	v_sub_u32_e32 v1, v1, v4
	v_max_u32_e32 v18, 1, v1
	s_movk_i32 s10, 0x2710
	v_mov_b32_e32 v4, 0
	s_mov_b32 s11, 0xbc8f1391
	s_mov_b32 s12, 0xbc8f
	s_brev_b32 s13, 12
	s_mov_b32 s14, 0xf800000
	v_mov_b32_e32 v1, 0x260
.LBB29_189:                             ; =>This Inner Loop Header: Depth=1
	v_mul_hi_u32 v19, v18, s11
	v_lshrrev_b32_e32 v19, 15, v19
	v_mul_u32_u24_e32 v21, 0xadc8, v19
	v_sub_u32_e32 v18, v18, v21
	v_mul_u32_u24_e32 v19, 0xd47, v19
	v_mul_lo_u32 v18, v18, s12
	v_xor_b32_e32 v21, 0x7fffffff, v19
	v_sub_u32_e32 v22, 0, v19
	v_cmp_lt_u32_e32 vcc, v18, v19
	v_cndmask_b32_e32 v19, v22, v21, vcc
	v_add_u32_e32 v18, v19, v18
	v_mul_hi_u32 v21, v18, s11
	v_lshrrev_b32_e32 v21, 15, v21
	v_mul_u32_u24_e32 v22, 0xadc8, v21
	v_add_u32_e32 v19, -1, v18
	v_sub_u32_e32 v18, v18, v22
	v_mul_u32_u24_e32 v21, 0xd47, v21
	v_mul_lo_u32 v18, v18, s12
	v_xor_b32_e32 v22, 0x7fffffff, v21
	v_sub_u32_e32 v23, 0, v21
	v_cmp_lt_u32_e32 vcc, v18, v21
	v_cndmask_b32_e32 v21, v23, v22, vcc
	v_add_u32_e32 v18, v21, v18
	v_mul_hi_u32 v22, v18, s11
	v_add_u32_e32 v21, -1, v18
	v_lshrrev_b32_e32 v22, 15, v22
	v_cvt_f32_u32_e32 v21, v21
	v_mul_u32_u24_e32 v23, 0xadc8, v22
	v_cvt_f32_u32_e32 v19, v19
	v_sub_u32_e32 v18, v18, v23
	v_mul_u32_u24_e32 v22, 0xd47, v22
	v_mul_lo_u32 v18, v18, s12
	v_xor_b32_e32 v23, 0x7fffffff, v22
	v_sub_u32_e32 v24, 0, v22
	v_cmp_lt_u32_e32 vcc, v18, v22
	v_fma_f32 v21, v21, s13, 0
	v_cndmask_b32_e32 v22, v24, v23, vcc
	v_fma_f32 v19, v19, s13, 0
	v_mul_f32_e32 v21, v21, v21
	v_add_u32_e32 v18, v22, v18
	v_fmac_f32_e32 v21, v19, v19
	v_mul_hi_u32 v22, v18, s11
	v_mul_f32_e32 v23, 0x4f800000, v21
	v_lshrrev_b32_e32 v22, 15, v22
	v_cmp_gt_f32_e32 vcc, s14, v21
	v_cndmask_b32_e32 v21, v21, v23, vcc
	v_mul_u32_u24_e32 v23, 0xadc8, v22
	v_add_u32_e32 v19, -1, v18
	v_sqrt_f32_e32 v24, v21
	v_sub_u32_e32 v18, v18, v23
	v_mul_u32_u24_e32 v22, 0xd47, v22
	v_mul_lo_u32 v18, v18, s12
	v_xor_b32_e32 v23, 0x7fffffff, v22
	v_sub_u32_e32 v25, 0, v22
	v_cmp_lt_u32_e64 s[4:5], v18, v22
	v_cndmask_b32_e64 v22, v25, v23, s[4:5]
	v_add_u32_e32 v18, v22, v18
	v_add_u32_e32 v22, -1, v24
	v_add_u32_e32 v23, 1, v24
	v_add_u32_e32 v25, -1, v18
	v_fma_f32 v26, -v22, v24, v21
	v_fma_f32 v27, -v23, v24, v21
	v_cvt_f32_u32_e32 v25, v25
	v_cmp_ge_f32_e64 s[4:5], 0, v26
	v_cvt_f32_u32_e32 v19, v19
	v_cndmask_b32_e64 v22, v24, v22, s[4:5]
	v_cmp_lt_f32_e64 s[4:5], 0, v27
	v_cndmask_b32_e64 v22, v22, v23, s[4:5]
	v_mul_f32_e32 v23, 0x37800000, v22
	v_cndmask_b32_e32 v22, v22, v23, vcc
	v_fma_f32 v23, v25, s13, 0
	v_cmp_class_f32_e32 vcc, v21, v1
	v_fma_f32 v19, v19, s13, 0
	v_cndmask_b32_e32 v21, v22, v21, vcc
	v_mul_f32_e32 v22, v23, v23
	v_add_f32_e32 v20, 1.0, v4
	v_cmp_nge_f32_e32 vcc, 1.0, v21
	v_fmac_f32_e32 v22, v19, v19
	v_cndmask_b32_e32 v4, v20, v4, vcc
	v_mul_f32_e32 v19, 0x4f800000, v22
	v_cmp_gt_f32_e32 vcc, s14, v22
	v_cndmask_b32_e32 v19, v22, v19, vcc
	v_sqrt_f32_e32 v21, v19
	s_add_i32 s10, s10, -2
	v_add_f32_e32 v20, 1.0, v4
	s_cmp_lg_u32 s10, 0
	v_add_u32_e32 v22, -1, v21
	v_add_u32_e32 v23, 1, v21
	v_fma_f32 v24, -v22, v21, v19
	v_fma_f32 v25, -v23, v21, v19
	v_cmp_ge_f32_e64 s[4:5], 0, v24
	v_cndmask_b32_e64 v21, v21, v22, s[4:5]
	v_cmp_lt_f32_e64 s[4:5], 0, v25
	v_cndmask_b32_e64 v21, v21, v23, s[4:5]
	v_mul_f32_e32 v22, 0x37800000, v21
	v_cndmask_b32_e32 v21, v21, v22, vcc
	v_cmp_class_f32_e32 vcc, v19, v1
	v_cndmask_b32_e32 v19, v21, v19, vcc
	v_cmp_nge_f32_e32 vcc, 1.0, v19
	v_cndmask_b32_e32 v4, v20, v4, vcc
	s_cbranch_scc1 .LBB29_189
; %bb.190:
	v_mul_f32_e32 v1, 4.0, v4
	s_mov_b32 s10, 0x461c4000
	v_div_scale_f32 v4, s[4:5], s10, s10, v1
	v_rcp_f32_e32 v18, v4
	v_fma_f32 v19, -v4, v18, 1.0
	v_fmac_f32_e32 v18, v19, v18
	v_div_scale_f32 v19, vcc, v1, s10, v1
	v_mul_f32_e32 v20, v19, v18
	v_fma_f32 v21, -v4, v20, v19
	v_fmac_f32_e32 v20, v21, v18
	v_fma_f32 v4, -v4, v20, v19
	v_div_fmas_f32 v4, v4, v18, v20
	v_div_fixup_f32 v4, v4, s10, v1
.LBB29_191:
	s_or_b64 exec, exec, s[8:9]
	v_add_u32_e32 v1, 0x180, v0
	v_cmp_gt_u32_e64 s[4:5], s39, v1
	s_and_saveexec_b64 s[10:11], s[4:5]
	s_cbranch_execz .LBB29_195
; %bb.192:
	v_add_u32_e32 v1, s38, v1
	v_lshlrev_b32_e32 v5, 12, v1
	s_mov_b32 s8, 0x7ed55d16
	v_add3_u32 v1, v1, v5, s8
	v_lshrrev_b32_e32 v5, 19, v1
	v_xor_b32_e32 v1, v1, v5
	v_xor_b32_e32 v1, 0xc761c23c, v1
	v_lshl_add_u32 v1, v1, 5, v1
	v_mov_b32_e32 v18, 0xaccf6200
	v_add_u32_e32 v5, 0xe9f8cc1d, v1
	v_lshl_add_u32 v1, v1, 9, v18
	v_xor_b32_e32 v1, v5, v1
	v_lshlrev_b32_e32 v5, 3, v1
	s_mov_b32 s8, 0xfd7046c5
	v_add3_u32 v1, v1, v5, s8
	v_xor_b32_sdwa v1, v1, v1 dst_sel:DWORD dst_unused:UNUSED_PAD src0_sel:DWORD src1_sel:WORD_1
	v_xor_b32_e32 v1, 0xb55a4f09, v1
	v_mul_hi_u32 v5, v1, 3
	v_sub_u32_e32 v18, v1, v5
	v_lshrrev_b32_e32 v18, 1, v18
	v_add_u32_e32 v5, v18, v5
	v_lshrrev_b32_e32 v5, 30, v5
	s_brev_b32 s8, -2
	v_mul_lo_u32 v5, v5, s8
	v_sub_u32_e32 v1, v1, v5
	v_max_u32_e32 v18, 1, v1
	s_movk_i32 s12, 0x2710
	v_mov_b32_e32 v5, 0
	s_mov_b32 s13, 0xbc8f1391
	s_mov_b32 s14, 0xbc8f
	s_brev_b32 s15, 12
	s_mov_b32 s16, 0xf800000
	v_mov_b32_e32 v1, 0x260
.LBB29_193:                             ; =>This Inner Loop Header: Depth=1
	v_mul_hi_u32 v19, v18, s13
	v_lshrrev_b32_e32 v19, 15, v19
	v_mul_u32_u24_e32 v21, 0xadc8, v19
	v_sub_u32_e32 v18, v18, v21
	v_mul_u32_u24_e32 v19, 0xd47, v19
	v_mul_lo_u32 v18, v18, s14
	v_xor_b32_e32 v21, 0x7fffffff, v19
	v_sub_u32_e32 v22, 0, v19
	v_cmp_lt_u32_e32 vcc, v18, v19
	v_cndmask_b32_e32 v19, v22, v21, vcc
	v_add_u32_e32 v18, v19, v18
	v_mul_hi_u32 v21, v18, s13
	v_lshrrev_b32_e32 v21, 15, v21
	v_mul_u32_u24_e32 v22, 0xadc8, v21
	v_add_u32_e32 v19, -1, v18
	v_sub_u32_e32 v18, v18, v22
	v_mul_u32_u24_e32 v21, 0xd47, v21
	v_mul_lo_u32 v18, v18, s14
	v_xor_b32_e32 v22, 0x7fffffff, v21
	v_sub_u32_e32 v23, 0, v21
	v_cmp_lt_u32_e32 vcc, v18, v21
	v_cndmask_b32_e32 v21, v23, v22, vcc
	v_add_u32_e32 v18, v21, v18
	v_mul_hi_u32 v22, v18, s13
	v_add_u32_e32 v21, -1, v18
	v_lshrrev_b32_e32 v22, 15, v22
	v_cvt_f32_u32_e32 v21, v21
	v_mul_u32_u24_e32 v23, 0xadc8, v22
	v_cvt_f32_u32_e32 v19, v19
	v_sub_u32_e32 v18, v18, v23
	v_mul_u32_u24_e32 v22, 0xd47, v22
	v_mul_lo_u32 v18, v18, s14
	v_xor_b32_e32 v23, 0x7fffffff, v22
	v_sub_u32_e32 v24, 0, v22
	v_cmp_lt_u32_e32 vcc, v18, v22
	v_fma_f32 v21, v21, s15, 0
	v_cndmask_b32_e32 v22, v24, v23, vcc
	v_fma_f32 v19, v19, s15, 0
	v_mul_f32_e32 v21, v21, v21
	v_add_u32_e32 v18, v22, v18
	v_fmac_f32_e32 v21, v19, v19
	v_mul_hi_u32 v22, v18, s13
	v_mul_f32_e32 v23, 0x4f800000, v21
	v_lshrrev_b32_e32 v22, 15, v22
	v_cmp_gt_f32_e32 vcc, s16, v21
	v_cndmask_b32_e32 v21, v21, v23, vcc
	v_mul_u32_u24_e32 v23, 0xadc8, v22
	v_add_u32_e32 v19, -1, v18
	v_sqrt_f32_e32 v24, v21
	v_sub_u32_e32 v18, v18, v23
	v_mul_u32_u24_e32 v22, 0xd47, v22
	v_mul_lo_u32 v18, v18, s14
	v_xor_b32_e32 v23, 0x7fffffff, v22
	v_sub_u32_e32 v25, 0, v22
	v_cmp_lt_u32_e64 s[8:9], v18, v22
	v_cndmask_b32_e64 v22, v25, v23, s[8:9]
	v_add_u32_e32 v18, v22, v18
	v_add_u32_e32 v22, -1, v24
	v_add_u32_e32 v23, 1, v24
	v_add_u32_e32 v25, -1, v18
	v_fma_f32 v26, -v22, v24, v21
	v_fma_f32 v27, -v23, v24, v21
	v_cvt_f32_u32_e32 v25, v25
	v_cmp_ge_f32_e64 s[8:9], 0, v26
	v_cvt_f32_u32_e32 v19, v19
	v_cndmask_b32_e64 v22, v24, v22, s[8:9]
	v_cmp_lt_f32_e64 s[8:9], 0, v27
	v_cndmask_b32_e64 v22, v22, v23, s[8:9]
	v_mul_f32_e32 v23, 0x37800000, v22
	v_cndmask_b32_e32 v22, v22, v23, vcc
	v_fma_f32 v23, v25, s15, 0
	v_cmp_class_f32_e32 vcc, v21, v1
	v_fma_f32 v19, v19, s15, 0
	v_cndmask_b32_e32 v21, v22, v21, vcc
	v_mul_f32_e32 v22, v23, v23
	v_add_f32_e32 v20, 1.0, v5
	v_cmp_nge_f32_e32 vcc, 1.0, v21
	v_fmac_f32_e32 v22, v19, v19
	v_cndmask_b32_e32 v5, v20, v5, vcc
	v_mul_f32_e32 v19, 0x4f800000, v22
	v_cmp_gt_f32_e32 vcc, s16, v22
	v_cndmask_b32_e32 v19, v22, v19, vcc
	v_sqrt_f32_e32 v21, v19
	s_add_i32 s12, s12, -2
	v_add_f32_e32 v20, 1.0, v5
	s_cmp_lg_u32 s12, 0
	v_add_u32_e32 v22, -1, v21
	v_add_u32_e32 v23, 1, v21
	v_fma_f32 v24, -v22, v21, v19
	v_fma_f32 v25, -v23, v21, v19
	v_cmp_ge_f32_e64 s[8:9], 0, v24
	v_cndmask_b32_e64 v21, v21, v22, s[8:9]
	v_cmp_lt_f32_e64 s[8:9], 0, v25
	v_cndmask_b32_e64 v21, v21, v23, s[8:9]
	v_mul_f32_e32 v22, 0x37800000, v21
	v_cndmask_b32_e32 v21, v21, v22, vcc
	v_cmp_class_f32_e32 vcc, v19, v1
	v_cndmask_b32_e32 v19, v21, v19, vcc
	v_cmp_nge_f32_e32 vcc, 1.0, v19
	v_cndmask_b32_e32 v5, v20, v5, vcc
	s_cbranch_scc1 .LBB29_193
; %bb.194:
	v_mul_f32_e32 v1, 4.0, v5
	s_mov_b32 s12, 0x461c4000
	v_div_scale_f32 v5, s[8:9], s12, s12, v1
	v_rcp_f32_e32 v18, v5
	v_fma_f32 v19, -v5, v18, 1.0
	v_fmac_f32_e32 v18, v19, v18
	v_div_scale_f32 v19, vcc, v1, s12, v1
	v_mul_f32_e32 v20, v19, v18
	v_fma_f32 v21, -v5, v20, v19
	v_fmac_f32_e32 v20, v21, v18
	v_fma_f32 v5, -v5, v20, v19
	v_div_fmas_f32 v5, v5, v18, v20
	v_div_fixup_f32 v5, v5, s12, v1
.LBB29_195:
	s_or_b64 exec, exec, s[10:11]
	v_add_u32_e32 v1, 0x200, v0
	v_cmp_gt_u32_e64 s[8:9], s39, v1
	s_and_saveexec_b64 s[12:13], s[8:9]
	s_cbranch_execz .LBB29_199
; %bb.196:
	v_add_u32_e32 v1, s38, v1
	v_lshlrev_b32_e32 v6, 12, v1
	s_mov_b32 s10, 0x7ed55d16
	v_add3_u32 v1, v1, v6, s10
	v_lshrrev_b32_e32 v6, 19, v1
	v_xor_b32_e32 v1, v1, v6
	v_xor_b32_e32 v1, 0xc761c23c, v1
	v_lshl_add_u32 v1, v1, 5, v1
	v_mov_b32_e32 v18, 0xaccf6200
	v_add_u32_e32 v6, 0xe9f8cc1d, v1
	v_lshl_add_u32 v1, v1, 9, v18
	v_xor_b32_e32 v1, v6, v1
	v_lshlrev_b32_e32 v6, 3, v1
	s_mov_b32 s10, 0xfd7046c5
	v_add3_u32 v1, v1, v6, s10
	v_xor_b32_sdwa v1, v1, v1 dst_sel:DWORD dst_unused:UNUSED_PAD src0_sel:DWORD src1_sel:WORD_1
	v_xor_b32_e32 v1, 0xb55a4f09, v1
	v_mul_hi_u32 v6, v1, 3
	v_sub_u32_e32 v18, v1, v6
	v_lshrrev_b32_e32 v18, 1, v18
	v_add_u32_e32 v6, v18, v6
	v_lshrrev_b32_e32 v6, 30, v6
	s_brev_b32 s10, -2
	v_mul_lo_u32 v6, v6, s10
	v_sub_u32_e32 v1, v1, v6
	v_max_u32_e32 v18, 1, v1
	s_movk_i32 s14, 0x2710
	v_mov_b32_e32 v6, 0
	s_mov_b32 s15, 0xbc8f1391
	s_mov_b32 s16, 0xbc8f
	s_brev_b32 s17, 12
	s_mov_b32 s18, 0xf800000
	v_mov_b32_e32 v1, 0x260
.LBB29_197:                             ; =>This Inner Loop Header: Depth=1
	v_mul_hi_u32 v19, v18, s15
	v_lshrrev_b32_e32 v19, 15, v19
	v_mul_u32_u24_e32 v21, 0xadc8, v19
	v_sub_u32_e32 v18, v18, v21
	v_mul_u32_u24_e32 v19, 0xd47, v19
	v_mul_lo_u32 v18, v18, s16
	v_xor_b32_e32 v21, 0x7fffffff, v19
	v_sub_u32_e32 v22, 0, v19
	v_cmp_lt_u32_e32 vcc, v18, v19
	v_cndmask_b32_e32 v19, v22, v21, vcc
	v_add_u32_e32 v18, v19, v18
	v_mul_hi_u32 v21, v18, s15
	v_lshrrev_b32_e32 v21, 15, v21
	v_mul_u32_u24_e32 v22, 0xadc8, v21
	v_add_u32_e32 v19, -1, v18
	v_sub_u32_e32 v18, v18, v22
	v_mul_u32_u24_e32 v21, 0xd47, v21
	v_mul_lo_u32 v18, v18, s16
	v_xor_b32_e32 v22, 0x7fffffff, v21
	v_sub_u32_e32 v23, 0, v21
	v_cmp_lt_u32_e32 vcc, v18, v21
	v_cndmask_b32_e32 v21, v23, v22, vcc
	v_add_u32_e32 v18, v21, v18
	v_mul_hi_u32 v22, v18, s15
	v_add_u32_e32 v21, -1, v18
	v_lshrrev_b32_e32 v22, 15, v22
	v_cvt_f32_u32_e32 v21, v21
	v_mul_u32_u24_e32 v23, 0xadc8, v22
	v_cvt_f32_u32_e32 v19, v19
	v_sub_u32_e32 v18, v18, v23
	v_mul_u32_u24_e32 v22, 0xd47, v22
	v_mul_lo_u32 v18, v18, s16
	v_xor_b32_e32 v23, 0x7fffffff, v22
	v_sub_u32_e32 v24, 0, v22
	v_cmp_lt_u32_e32 vcc, v18, v22
	v_fma_f32 v21, v21, s17, 0
	v_cndmask_b32_e32 v22, v24, v23, vcc
	v_fma_f32 v19, v19, s17, 0
	v_mul_f32_e32 v21, v21, v21
	v_add_u32_e32 v18, v22, v18
	v_fmac_f32_e32 v21, v19, v19
	v_mul_hi_u32 v22, v18, s15
	v_mul_f32_e32 v23, 0x4f800000, v21
	v_lshrrev_b32_e32 v22, 15, v22
	v_cmp_gt_f32_e32 vcc, s18, v21
	v_cndmask_b32_e32 v21, v21, v23, vcc
	v_mul_u32_u24_e32 v23, 0xadc8, v22
	v_add_u32_e32 v19, -1, v18
	v_sqrt_f32_e32 v24, v21
	v_sub_u32_e32 v18, v18, v23
	v_mul_u32_u24_e32 v22, 0xd47, v22
	v_mul_lo_u32 v18, v18, s16
	v_xor_b32_e32 v23, 0x7fffffff, v22
	v_sub_u32_e32 v25, 0, v22
	v_cmp_lt_u32_e64 s[10:11], v18, v22
	v_cndmask_b32_e64 v22, v25, v23, s[10:11]
	v_add_u32_e32 v18, v22, v18
	v_add_u32_e32 v22, -1, v24
	v_add_u32_e32 v23, 1, v24
	v_add_u32_e32 v25, -1, v18
	v_fma_f32 v26, -v22, v24, v21
	v_fma_f32 v27, -v23, v24, v21
	v_cvt_f32_u32_e32 v25, v25
	v_cmp_ge_f32_e64 s[10:11], 0, v26
	v_cvt_f32_u32_e32 v19, v19
	v_cndmask_b32_e64 v22, v24, v22, s[10:11]
	v_cmp_lt_f32_e64 s[10:11], 0, v27
	v_cndmask_b32_e64 v22, v22, v23, s[10:11]
	v_mul_f32_e32 v23, 0x37800000, v22
	v_cndmask_b32_e32 v22, v22, v23, vcc
	v_fma_f32 v23, v25, s17, 0
	v_cmp_class_f32_e32 vcc, v21, v1
	v_fma_f32 v19, v19, s17, 0
	v_cndmask_b32_e32 v21, v22, v21, vcc
	v_mul_f32_e32 v22, v23, v23
	v_add_f32_e32 v20, 1.0, v6
	v_cmp_nge_f32_e32 vcc, 1.0, v21
	v_fmac_f32_e32 v22, v19, v19
	v_cndmask_b32_e32 v6, v20, v6, vcc
	v_mul_f32_e32 v19, 0x4f800000, v22
	v_cmp_gt_f32_e32 vcc, s18, v22
	v_cndmask_b32_e32 v19, v22, v19, vcc
	v_sqrt_f32_e32 v21, v19
	s_add_i32 s14, s14, -2
	v_add_f32_e32 v20, 1.0, v6
	s_cmp_lg_u32 s14, 0
	v_add_u32_e32 v22, -1, v21
	v_add_u32_e32 v23, 1, v21
	v_fma_f32 v24, -v22, v21, v19
	v_fma_f32 v25, -v23, v21, v19
	v_cmp_ge_f32_e64 s[10:11], 0, v24
	v_cndmask_b32_e64 v21, v21, v22, s[10:11]
	v_cmp_lt_f32_e64 s[10:11], 0, v25
	v_cndmask_b32_e64 v21, v21, v23, s[10:11]
	v_mul_f32_e32 v22, 0x37800000, v21
	v_cndmask_b32_e32 v21, v21, v22, vcc
	v_cmp_class_f32_e32 vcc, v19, v1
	v_cndmask_b32_e32 v19, v21, v19, vcc
	v_cmp_nge_f32_e32 vcc, 1.0, v19
	v_cndmask_b32_e32 v6, v20, v6, vcc
	s_cbranch_scc1 .LBB29_197
; %bb.198:
	v_mul_f32_e32 v1, 4.0, v6
	s_mov_b32 s14, 0x461c4000
	v_div_scale_f32 v6, s[10:11], s14, s14, v1
	v_rcp_f32_e32 v18, v6
	v_fma_f32 v19, -v6, v18, 1.0
	v_fmac_f32_e32 v18, v19, v18
	v_div_scale_f32 v19, vcc, v1, s14, v1
	v_mul_f32_e32 v20, v19, v18
	v_fma_f32 v21, -v6, v20, v19
	v_fmac_f32_e32 v20, v21, v18
	v_fma_f32 v6, -v6, v20, v19
	v_div_fmas_f32 v6, v6, v18, v20
	v_div_fixup_f32 v6, v6, s14, v1
.LBB29_199:
	s_or_b64 exec, exec, s[12:13]
	v_add_u32_e32 v1, 0x280, v0
	v_cmp_gt_u32_e64 s[10:11], s39, v1
	s_and_saveexec_b64 s[14:15], s[10:11]
	s_cbranch_execz .LBB29_203
; %bb.200:
	v_add_u32_e32 v1, s38, v1
	v_lshlrev_b32_e32 v7, 12, v1
	s_mov_b32 s12, 0x7ed55d16
	v_add3_u32 v1, v1, v7, s12
	v_lshrrev_b32_e32 v7, 19, v1
	v_xor_b32_e32 v1, v1, v7
	v_xor_b32_e32 v1, 0xc761c23c, v1
	v_lshl_add_u32 v1, v1, 5, v1
	v_mov_b32_e32 v18, 0xaccf6200
	v_add_u32_e32 v7, 0xe9f8cc1d, v1
	v_lshl_add_u32 v1, v1, 9, v18
	v_xor_b32_e32 v1, v7, v1
	v_lshlrev_b32_e32 v7, 3, v1
	s_mov_b32 s12, 0xfd7046c5
	v_add3_u32 v1, v1, v7, s12
	v_xor_b32_sdwa v1, v1, v1 dst_sel:DWORD dst_unused:UNUSED_PAD src0_sel:DWORD src1_sel:WORD_1
	v_xor_b32_e32 v1, 0xb55a4f09, v1
	v_mul_hi_u32 v7, v1, 3
	v_sub_u32_e32 v18, v1, v7
	v_lshrrev_b32_e32 v18, 1, v18
	v_add_u32_e32 v7, v18, v7
	v_lshrrev_b32_e32 v7, 30, v7
	s_brev_b32 s12, -2
	v_mul_lo_u32 v7, v7, s12
	v_sub_u32_e32 v1, v1, v7
	v_max_u32_e32 v18, 1, v1
	s_movk_i32 s16, 0x2710
	v_mov_b32_e32 v7, 0
	s_mov_b32 s17, 0xbc8f1391
	s_mov_b32 s18, 0xbc8f
	s_brev_b32 s19, 12
	s_mov_b32 s20, 0xf800000
	v_mov_b32_e32 v1, 0x260
.LBB29_201:                             ; =>This Inner Loop Header: Depth=1
	v_mul_hi_u32 v19, v18, s17
	v_lshrrev_b32_e32 v19, 15, v19
	v_mul_u32_u24_e32 v21, 0xadc8, v19
	v_sub_u32_e32 v18, v18, v21
	v_mul_u32_u24_e32 v19, 0xd47, v19
	v_mul_lo_u32 v18, v18, s18
	v_xor_b32_e32 v21, 0x7fffffff, v19
	v_sub_u32_e32 v22, 0, v19
	v_cmp_lt_u32_e32 vcc, v18, v19
	v_cndmask_b32_e32 v19, v22, v21, vcc
	v_add_u32_e32 v18, v19, v18
	v_mul_hi_u32 v21, v18, s17
	v_lshrrev_b32_e32 v21, 15, v21
	v_mul_u32_u24_e32 v22, 0xadc8, v21
	v_add_u32_e32 v19, -1, v18
	v_sub_u32_e32 v18, v18, v22
	v_mul_u32_u24_e32 v21, 0xd47, v21
	v_mul_lo_u32 v18, v18, s18
	v_xor_b32_e32 v22, 0x7fffffff, v21
	v_sub_u32_e32 v23, 0, v21
	v_cmp_lt_u32_e32 vcc, v18, v21
	v_cndmask_b32_e32 v21, v23, v22, vcc
	v_add_u32_e32 v18, v21, v18
	v_mul_hi_u32 v22, v18, s17
	v_add_u32_e32 v21, -1, v18
	v_lshrrev_b32_e32 v22, 15, v22
	v_cvt_f32_u32_e32 v21, v21
	v_mul_u32_u24_e32 v23, 0xadc8, v22
	v_cvt_f32_u32_e32 v19, v19
	v_sub_u32_e32 v18, v18, v23
	v_mul_u32_u24_e32 v22, 0xd47, v22
	v_mul_lo_u32 v18, v18, s18
	v_xor_b32_e32 v23, 0x7fffffff, v22
	v_sub_u32_e32 v24, 0, v22
	v_cmp_lt_u32_e32 vcc, v18, v22
	v_fma_f32 v21, v21, s19, 0
	v_cndmask_b32_e32 v22, v24, v23, vcc
	v_fma_f32 v19, v19, s19, 0
	v_mul_f32_e32 v21, v21, v21
	v_add_u32_e32 v18, v22, v18
	v_fmac_f32_e32 v21, v19, v19
	v_mul_hi_u32 v22, v18, s17
	v_mul_f32_e32 v23, 0x4f800000, v21
	v_lshrrev_b32_e32 v22, 15, v22
	v_cmp_gt_f32_e32 vcc, s20, v21
	v_cndmask_b32_e32 v21, v21, v23, vcc
	v_mul_u32_u24_e32 v23, 0xadc8, v22
	v_add_u32_e32 v19, -1, v18
	v_sqrt_f32_e32 v24, v21
	v_sub_u32_e32 v18, v18, v23
	v_mul_u32_u24_e32 v22, 0xd47, v22
	v_mul_lo_u32 v18, v18, s18
	v_xor_b32_e32 v23, 0x7fffffff, v22
	v_sub_u32_e32 v25, 0, v22
	v_cmp_lt_u32_e64 s[12:13], v18, v22
	v_cndmask_b32_e64 v22, v25, v23, s[12:13]
	v_add_u32_e32 v18, v22, v18
	v_add_u32_e32 v22, -1, v24
	v_add_u32_e32 v23, 1, v24
	v_add_u32_e32 v25, -1, v18
	v_fma_f32 v26, -v22, v24, v21
	v_fma_f32 v27, -v23, v24, v21
	v_cvt_f32_u32_e32 v25, v25
	v_cmp_ge_f32_e64 s[12:13], 0, v26
	v_cvt_f32_u32_e32 v19, v19
	v_cndmask_b32_e64 v22, v24, v22, s[12:13]
	v_cmp_lt_f32_e64 s[12:13], 0, v27
	v_cndmask_b32_e64 v22, v22, v23, s[12:13]
	v_mul_f32_e32 v23, 0x37800000, v22
	v_cndmask_b32_e32 v22, v22, v23, vcc
	v_fma_f32 v23, v25, s19, 0
	v_cmp_class_f32_e32 vcc, v21, v1
	v_fma_f32 v19, v19, s19, 0
	v_cndmask_b32_e32 v21, v22, v21, vcc
	v_mul_f32_e32 v22, v23, v23
	v_add_f32_e32 v20, 1.0, v7
	v_cmp_nge_f32_e32 vcc, 1.0, v21
	v_fmac_f32_e32 v22, v19, v19
	v_cndmask_b32_e32 v7, v20, v7, vcc
	v_mul_f32_e32 v19, 0x4f800000, v22
	v_cmp_gt_f32_e32 vcc, s20, v22
	v_cndmask_b32_e32 v19, v22, v19, vcc
	v_sqrt_f32_e32 v21, v19
	s_add_i32 s16, s16, -2
	v_add_f32_e32 v20, 1.0, v7
	s_cmp_lg_u32 s16, 0
	v_add_u32_e32 v22, -1, v21
	v_add_u32_e32 v23, 1, v21
	v_fma_f32 v24, -v22, v21, v19
	v_fma_f32 v25, -v23, v21, v19
	v_cmp_ge_f32_e64 s[12:13], 0, v24
	v_cndmask_b32_e64 v21, v21, v22, s[12:13]
	v_cmp_lt_f32_e64 s[12:13], 0, v25
	v_cndmask_b32_e64 v21, v21, v23, s[12:13]
	v_mul_f32_e32 v22, 0x37800000, v21
	v_cndmask_b32_e32 v21, v21, v22, vcc
	v_cmp_class_f32_e32 vcc, v19, v1
	v_cndmask_b32_e32 v19, v21, v19, vcc
	v_cmp_nge_f32_e32 vcc, 1.0, v19
	v_cndmask_b32_e32 v7, v20, v7, vcc
	s_cbranch_scc1 .LBB29_201
; %bb.202:
	v_mul_f32_e32 v1, 4.0, v7
	s_mov_b32 s16, 0x461c4000
	v_div_scale_f32 v7, s[12:13], s16, s16, v1
	v_rcp_f32_e32 v18, v7
	v_fma_f32 v19, -v7, v18, 1.0
	v_fmac_f32_e32 v18, v19, v18
	v_div_scale_f32 v19, vcc, v1, s16, v1
	v_mul_f32_e32 v20, v19, v18
	v_fma_f32 v21, -v7, v20, v19
	v_fmac_f32_e32 v20, v21, v18
	v_fma_f32 v7, -v7, v20, v19
	v_div_fmas_f32 v7, v7, v18, v20
	v_div_fixup_f32 v7, v7, s16, v1
.LBB29_203:
	s_or_b64 exec, exec, s[14:15]
	v_add_u32_e32 v1, 0x300, v0
	v_cmp_gt_u32_e64 s[12:13], s39, v1
	s_and_saveexec_b64 s[16:17], s[12:13]
	s_cbranch_execz .LBB29_207
; %bb.204:
	v_add_u32_e32 v1, s38, v1
	v_lshlrev_b32_e32 v8, 12, v1
	s_mov_b32 s14, 0x7ed55d16
	v_add3_u32 v1, v1, v8, s14
	v_lshrrev_b32_e32 v8, 19, v1
	v_xor_b32_e32 v1, v1, v8
	v_xor_b32_e32 v1, 0xc761c23c, v1
	v_lshl_add_u32 v1, v1, 5, v1
	v_mov_b32_e32 v18, 0xaccf6200
	v_add_u32_e32 v8, 0xe9f8cc1d, v1
	v_lshl_add_u32 v1, v1, 9, v18
	v_xor_b32_e32 v1, v8, v1
	v_lshlrev_b32_e32 v8, 3, v1
	s_mov_b32 s14, 0xfd7046c5
	v_add3_u32 v1, v1, v8, s14
	v_xor_b32_sdwa v1, v1, v1 dst_sel:DWORD dst_unused:UNUSED_PAD src0_sel:DWORD src1_sel:WORD_1
	v_xor_b32_e32 v1, 0xb55a4f09, v1
	v_mul_hi_u32 v8, v1, 3
	v_sub_u32_e32 v18, v1, v8
	v_lshrrev_b32_e32 v18, 1, v18
	v_add_u32_e32 v8, v18, v8
	v_lshrrev_b32_e32 v8, 30, v8
	s_brev_b32 s14, -2
	v_mul_lo_u32 v8, v8, s14
	v_sub_u32_e32 v1, v1, v8
	v_max_u32_e32 v18, 1, v1
	s_movk_i32 s18, 0x2710
	v_mov_b32_e32 v8, 0
	s_mov_b32 s19, 0xbc8f1391
	s_mov_b32 s20, 0xbc8f
	s_brev_b32 s21, 12
	s_mov_b32 s22, 0xf800000
	v_mov_b32_e32 v1, 0x260
.LBB29_205:                             ; =>This Inner Loop Header: Depth=1
	v_mul_hi_u32 v19, v18, s19
	v_lshrrev_b32_e32 v19, 15, v19
	v_mul_u32_u24_e32 v21, 0xadc8, v19
	v_sub_u32_e32 v18, v18, v21
	v_mul_u32_u24_e32 v19, 0xd47, v19
	v_mul_lo_u32 v18, v18, s20
	v_xor_b32_e32 v21, 0x7fffffff, v19
	v_sub_u32_e32 v22, 0, v19
	v_cmp_lt_u32_e32 vcc, v18, v19
	v_cndmask_b32_e32 v19, v22, v21, vcc
	v_add_u32_e32 v18, v19, v18
	v_mul_hi_u32 v21, v18, s19
	v_lshrrev_b32_e32 v21, 15, v21
	v_mul_u32_u24_e32 v22, 0xadc8, v21
	v_add_u32_e32 v19, -1, v18
	v_sub_u32_e32 v18, v18, v22
	v_mul_u32_u24_e32 v21, 0xd47, v21
	v_mul_lo_u32 v18, v18, s20
	v_xor_b32_e32 v22, 0x7fffffff, v21
	v_sub_u32_e32 v23, 0, v21
	v_cmp_lt_u32_e32 vcc, v18, v21
	v_cndmask_b32_e32 v21, v23, v22, vcc
	v_add_u32_e32 v18, v21, v18
	v_mul_hi_u32 v22, v18, s19
	v_add_u32_e32 v21, -1, v18
	v_lshrrev_b32_e32 v22, 15, v22
	v_cvt_f32_u32_e32 v21, v21
	v_mul_u32_u24_e32 v23, 0xadc8, v22
	v_cvt_f32_u32_e32 v19, v19
	v_sub_u32_e32 v18, v18, v23
	v_mul_u32_u24_e32 v22, 0xd47, v22
	v_mul_lo_u32 v18, v18, s20
	v_xor_b32_e32 v23, 0x7fffffff, v22
	v_sub_u32_e32 v24, 0, v22
	v_cmp_lt_u32_e32 vcc, v18, v22
	v_fma_f32 v21, v21, s21, 0
	v_cndmask_b32_e32 v22, v24, v23, vcc
	v_fma_f32 v19, v19, s21, 0
	v_mul_f32_e32 v21, v21, v21
	v_add_u32_e32 v18, v22, v18
	v_fmac_f32_e32 v21, v19, v19
	v_mul_hi_u32 v22, v18, s19
	v_mul_f32_e32 v23, 0x4f800000, v21
	v_lshrrev_b32_e32 v22, 15, v22
	v_cmp_gt_f32_e32 vcc, s22, v21
	v_cndmask_b32_e32 v21, v21, v23, vcc
	v_mul_u32_u24_e32 v23, 0xadc8, v22
	v_add_u32_e32 v19, -1, v18
	v_sqrt_f32_e32 v24, v21
	v_sub_u32_e32 v18, v18, v23
	v_mul_u32_u24_e32 v22, 0xd47, v22
	v_mul_lo_u32 v18, v18, s20
	v_xor_b32_e32 v23, 0x7fffffff, v22
	v_sub_u32_e32 v25, 0, v22
	v_cmp_lt_u32_e64 s[14:15], v18, v22
	v_cndmask_b32_e64 v22, v25, v23, s[14:15]
	v_add_u32_e32 v18, v22, v18
	v_add_u32_e32 v22, -1, v24
	v_add_u32_e32 v23, 1, v24
	v_add_u32_e32 v25, -1, v18
	v_fma_f32 v26, -v22, v24, v21
	v_fma_f32 v27, -v23, v24, v21
	v_cvt_f32_u32_e32 v25, v25
	v_cmp_ge_f32_e64 s[14:15], 0, v26
	v_cvt_f32_u32_e32 v19, v19
	v_cndmask_b32_e64 v22, v24, v22, s[14:15]
	v_cmp_lt_f32_e64 s[14:15], 0, v27
	v_cndmask_b32_e64 v22, v22, v23, s[14:15]
	v_mul_f32_e32 v23, 0x37800000, v22
	v_cndmask_b32_e32 v22, v22, v23, vcc
	v_fma_f32 v23, v25, s21, 0
	v_cmp_class_f32_e32 vcc, v21, v1
	v_fma_f32 v19, v19, s21, 0
	v_cndmask_b32_e32 v21, v22, v21, vcc
	v_mul_f32_e32 v22, v23, v23
	v_add_f32_e32 v20, 1.0, v8
	v_cmp_nge_f32_e32 vcc, 1.0, v21
	v_fmac_f32_e32 v22, v19, v19
	v_cndmask_b32_e32 v8, v20, v8, vcc
	v_mul_f32_e32 v19, 0x4f800000, v22
	v_cmp_gt_f32_e32 vcc, s22, v22
	v_cndmask_b32_e32 v19, v22, v19, vcc
	v_sqrt_f32_e32 v21, v19
	s_add_i32 s18, s18, -2
	v_add_f32_e32 v20, 1.0, v8
	s_cmp_lg_u32 s18, 0
	v_add_u32_e32 v22, -1, v21
	v_add_u32_e32 v23, 1, v21
	v_fma_f32 v24, -v22, v21, v19
	v_fma_f32 v25, -v23, v21, v19
	v_cmp_ge_f32_e64 s[14:15], 0, v24
	v_cndmask_b32_e64 v21, v21, v22, s[14:15]
	v_cmp_lt_f32_e64 s[14:15], 0, v25
	v_cndmask_b32_e64 v21, v21, v23, s[14:15]
	v_mul_f32_e32 v22, 0x37800000, v21
	v_cndmask_b32_e32 v21, v21, v22, vcc
	v_cmp_class_f32_e32 vcc, v19, v1
	v_cndmask_b32_e32 v19, v21, v19, vcc
	v_cmp_nge_f32_e32 vcc, 1.0, v19
	v_cndmask_b32_e32 v8, v20, v8, vcc
	s_cbranch_scc1 .LBB29_205
; %bb.206:
	v_mul_f32_e32 v1, 4.0, v8
	s_mov_b32 s18, 0x461c4000
	v_div_scale_f32 v8, s[14:15], s18, s18, v1
	v_rcp_f32_e32 v18, v8
	v_fma_f32 v19, -v8, v18, 1.0
	v_fmac_f32_e32 v18, v19, v18
	v_div_scale_f32 v19, vcc, v1, s18, v1
	v_mul_f32_e32 v20, v19, v18
	v_fma_f32 v21, -v8, v20, v19
	v_fmac_f32_e32 v20, v21, v18
	v_fma_f32 v8, -v8, v20, v19
	v_div_fmas_f32 v8, v8, v18, v20
	v_div_fixup_f32 v8, v8, s18, v1
.LBB29_207:
	s_or_b64 exec, exec, s[16:17]
	v_add_u32_e32 v1, 0x380, v0
	v_cmp_gt_u32_e64 s[14:15], s39, v1
	s_and_saveexec_b64 s[18:19], s[14:15]
	s_cbranch_execz .LBB29_211
; %bb.208:
	v_add_u32_e32 v1, s38, v1
	v_lshlrev_b32_e32 v9, 12, v1
	s_mov_b32 s16, 0x7ed55d16
	v_add3_u32 v1, v1, v9, s16
	v_lshrrev_b32_e32 v9, 19, v1
	v_xor_b32_e32 v1, v1, v9
	v_xor_b32_e32 v1, 0xc761c23c, v1
	v_lshl_add_u32 v1, v1, 5, v1
	v_mov_b32_e32 v18, 0xaccf6200
	v_add_u32_e32 v9, 0xe9f8cc1d, v1
	v_lshl_add_u32 v1, v1, 9, v18
	v_xor_b32_e32 v1, v9, v1
	v_lshlrev_b32_e32 v9, 3, v1
	s_mov_b32 s16, 0xfd7046c5
	v_add3_u32 v1, v1, v9, s16
	v_xor_b32_sdwa v1, v1, v1 dst_sel:DWORD dst_unused:UNUSED_PAD src0_sel:DWORD src1_sel:WORD_1
	v_xor_b32_e32 v1, 0xb55a4f09, v1
	v_mul_hi_u32 v9, v1, 3
	v_sub_u32_e32 v18, v1, v9
	v_lshrrev_b32_e32 v18, 1, v18
	v_add_u32_e32 v9, v18, v9
	v_lshrrev_b32_e32 v9, 30, v9
	s_brev_b32 s16, -2
	v_mul_lo_u32 v9, v9, s16
	v_sub_u32_e32 v1, v1, v9
	v_max_u32_e32 v18, 1, v1
	s_movk_i32 s20, 0x2710
	v_mov_b32_e32 v9, 0
	s_mov_b32 s21, 0xbc8f1391
	s_mov_b32 s22, 0xbc8f
	s_brev_b32 s23, 12
	s_mov_b32 s24, 0xf800000
	v_mov_b32_e32 v1, 0x260
.LBB29_209:                             ; =>This Inner Loop Header: Depth=1
	v_mul_hi_u32 v19, v18, s21
	v_lshrrev_b32_e32 v19, 15, v19
	v_mul_u32_u24_e32 v21, 0xadc8, v19
	v_sub_u32_e32 v18, v18, v21
	v_mul_u32_u24_e32 v19, 0xd47, v19
	v_mul_lo_u32 v18, v18, s22
	v_xor_b32_e32 v21, 0x7fffffff, v19
	v_sub_u32_e32 v22, 0, v19
	v_cmp_lt_u32_e32 vcc, v18, v19
	v_cndmask_b32_e32 v19, v22, v21, vcc
	v_add_u32_e32 v18, v19, v18
	v_mul_hi_u32 v21, v18, s21
	v_lshrrev_b32_e32 v21, 15, v21
	v_mul_u32_u24_e32 v22, 0xadc8, v21
	v_add_u32_e32 v19, -1, v18
	v_sub_u32_e32 v18, v18, v22
	v_mul_u32_u24_e32 v21, 0xd47, v21
	v_mul_lo_u32 v18, v18, s22
	v_xor_b32_e32 v22, 0x7fffffff, v21
	v_sub_u32_e32 v23, 0, v21
	v_cmp_lt_u32_e32 vcc, v18, v21
	v_cndmask_b32_e32 v21, v23, v22, vcc
	v_add_u32_e32 v18, v21, v18
	v_mul_hi_u32 v22, v18, s21
	v_add_u32_e32 v21, -1, v18
	v_lshrrev_b32_e32 v22, 15, v22
	v_cvt_f32_u32_e32 v21, v21
	v_mul_u32_u24_e32 v23, 0xadc8, v22
	v_cvt_f32_u32_e32 v19, v19
	v_sub_u32_e32 v18, v18, v23
	v_mul_u32_u24_e32 v22, 0xd47, v22
	v_mul_lo_u32 v18, v18, s22
	v_xor_b32_e32 v23, 0x7fffffff, v22
	v_sub_u32_e32 v24, 0, v22
	v_cmp_lt_u32_e32 vcc, v18, v22
	v_fma_f32 v21, v21, s23, 0
	v_cndmask_b32_e32 v22, v24, v23, vcc
	v_fma_f32 v19, v19, s23, 0
	v_mul_f32_e32 v21, v21, v21
	v_add_u32_e32 v18, v22, v18
	v_fmac_f32_e32 v21, v19, v19
	v_mul_hi_u32 v22, v18, s21
	v_mul_f32_e32 v23, 0x4f800000, v21
	v_lshrrev_b32_e32 v22, 15, v22
	v_cmp_gt_f32_e32 vcc, s24, v21
	v_cndmask_b32_e32 v21, v21, v23, vcc
	v_mul_u32_u24_e32 v23, 0xadc8, v22
	v_add_u32_e32 v19, -1, v18
	v_sqrt_f32_e32 v24, v21
	v_sub_u32_e32 v18, v18, v23
	v_mul_u32_u24_e32 v22, 0xd47, v22
	v_mul_lo_u32 v18, v18, s22
	v_xor_b32_e32 v23, 0x7fffffff, v22
	v_sub_u32_e32 v25, 0, v22
	v_cmp_lt_u32_e64 s[16:17], v18, v22
	v_cndmask_b32_e64 v22, v25, v23, s[16:17]
	v_add_u32_e32 v18, v22, v18
	v_add_u32_e32 v22, -1, v24
	v_add_u32_e32 v23, 1, v24
	v_add_u32_e32 v25, -1, v18
	v_fma_f32 v26, -v22, v24, v21
	v_fma_f32 v27, -v23, v24, v21
	v_cvt_f32_u32_e32 v25, v25
	v_cmp_ge_f32_e64 s[16:17], 0, v26
	v_cvt_f32_u32_e32 v19, v19
	v_cndmask_b32_e64 v22, v24, v22, s[16:17]
	v_cmp_lt_f32_e64 s[16:17], 0, v27
	v_cndmask_b32_e64 v22, v22, v23, s[16:17]
	v_mul_f32_e32 v23, 0x37800000, v22
	v_cndmask_b32_e32 v22, v22, v23, vcc
	v_fma_f32 v23, v25, s23, 0
	v_cmp_class_f32_e32 vcc, v21, v1
	v_fma_f32 v19, v19, s23, 0
	v_cndmask_b32_e32 v21, v22, v21, vcc
	v_mul_f32_e32 v22, v23, v23
	v_add_f32_e32 v20, 1.0, v9
	v_cmp_nge_f32_e32 vcc, 1.0, v21
	v_fmac_f32_e32 v22, v19, v19
	v_cndmask_b32_e32 v9, v20, v9, vcc
	v_mul_f32_e32 v19, 0x4f800000, v22
	v_cmp_gt_f32_e32 vcc, s24, v22
	v_cndmask_b32_e32 v19, v22, v19, vcc
	v_sqrt_f32_e32 v21, v19
	s_add_i32 s20, s20, -2
	v_add_f32_e32 v20, 1.0, v9
	s_cmp_lg_u32 s20, 0
	v_add_u32_e32 v22, -1, v21
	v_add_u32_e32 v23, 1, v21
	v_fma_f32 v24, -v22, v21, v19
	v_fma_f32 v25, -v23, v21, v19
	v_cmp_ge_f32_e64 s[16:17], 0, v24
	v_cndmask_b32_e64 v21, v21, v22, s[16:17]
	v_cmp_lt_f32_e64 s[16:17], 0, v25
	v_cndmask_b32_e64 v21, v21, v23, s[16:17]
	v_mul_f32_e32 v22, 0x37800000, v21
	v_cndmask_b32_e32 v21, v21, v22, vcc
	v_cmp_class_f32_e32 vcc, v19, v1
	v_cndmask_b32_e32 v19, v21, v19, vcc
	v_cmp_nge_f32_e32 vcc, 1.0, v19
	v_cndmask_b32_e32 v9, v20, v9, vcc
	s_cbranch_scc1 .LBB29_209
; %bb.210:
	v_mul_f32_e32 v1, 4.0, v9
	s_mov_b32 s20, 0x461c4000
	v_div_scale_f32 v9, s[16:17], s20, s20, v1
	v_rcp_f32_e32 v18, v9
	v_fma_f32 v19, -v9, v18, 1.0
	v_fmac_f32_e32 v18, v19, v18
	v_div_scale_f32 v19, vcc, v1, s20, v1
	v_mul_f32_e32 v20, v19, v18
	v_fma_f32 v21, -v9, v20, v19
	v_fmac_f32_e32 v20, v21, v18
	v_fma_f32 v9, -v9, v20, v19
	v_div_fmas_f32 v9, v9, v18, v20
	v_div_fixup_f32 v9, v9, s20, v1
.LBB29_211:
	s_or_b64 exec, exec, s[18:19]
	v_or_b32_e32 v1, 0x400, v0
	v_cmp_gt_u32_e64 s[16:17], s39, v1
	s_and_saveexec_b64 s[20:21], s[16:17]
	s_cbranch_execz .LBB29_215
; %bb.212:
	v_add_u32_e32 v1, s38, v1
	v_lshlrev_b32_e32 v10, 12, v1
	s_mov_b32 s18, 0x7ed55d16
	v_add3_u32 v1, v1, v10, s18
	v_lshrrev_b32_e32 v10, 19, v1
	v_xor_b32_e32 v1, v1, v10
	v_xor_b32_e32 v1, 0xc761c23c, v1
	v_lshl_add_u32 v1, v1, 5, v1
	v_mov_b32_e32 v18, 0xaccf6200
	v_add_u32_e32 v10, 0xe9f8cc1d, v1
	v_lshl_add_u32 v1, v1, 9, v18
	v_xor_b32_e32 v1, v10, v1
	v_lshlrev_b32_e32 v10, 3, v1
	s_mov_b32 s18, 0xfd7046c5
	v_add3_u32 v1, v1, v10, s18
	v_xor_b32_sdwa v1, v1, v1 dst_sel:DWORD dst_unused:UNUSED_PAD src0_sel:DWORD src1_sel:WORD_1
	v_xor_b32_e32 v1, 0xb55a4f09, v1
	v_mul_hi_u32 v10, v1, 3
	v_sub_u32_e32 v18, v1, v10
	v_lshrrev_b32_e32 v18, 1, v18
	v_add_u32_e32 v10, v18, v10
	v_lshrrev_b32_e32 v10, 30, v10
	s_brev_b32 s18, -2
	v_mul_lo_u32 v10, v10, s18
	v_sub_u32_e32 v1, v1, v10
	v_max_u32_e32 v18, 1, v1
	s_movk_i32 s22, 0x2710
	v_mov_b32_e32 v10, 0
	s_mov_b32 s23, 0xbc8f1391
	s_mov_b32 s24, 0xbc8f
	s_brev_b32 s25, 12
	s_mov_b32 s26, 0xf800000
	v_mov_b32_e32 v1, 0x260
.LBB29_213:                             ; =>This Inner Loop Header: Depth=1
	v_mul_hi_u32 v19, v18, s23
	v_lshrrev_b32_e32 v19, 15, v19
	v_mul_u32_u24_e32 v21, 0xadc8, v19
	v_sub_u32_e32 v18, v18, v21
	v_mul_u32_u24_e32 v19, 0xd47, v19
	v_mul_lo_u32 v18, v18, s24
	v_xor_b32_e32 v21, 0x7fffffff, v19
	v_sub_u32_e32 v22, 0, v19
	v_cmp_lt_u32_e32 vcc, v18, v19
	v_cndmask_b32_e32 v19, v22, v21, vcc
	v_add_u32_e32 v18, v19, v18
	v_mul_hi_u32 v21, v18, s23
	v_lshrrev_b32_e32 v21, 15, v21
	v_mul_u32_u24_e32 v22, 0xadc8, v21
	v_add_u32_e32 v19, -1, v18
	v_sub_u32_e32 v18, v18, v22
	v_mul_u32_u24_e32 v21, 0xd47, v21
	v_mul_lo_u32 v18, v18, s24
	v_xor_b32_e32 v22, 0x7fffffff, v21
	v_sub_u32_e32 v23, 0, v21
	v_cmp_lt_u32_e32 vcc, v18, v21
	v_cndmask_b32_e32 v21, v23, v22, vcc
	v_add_u32_e32 v18, v21, v18
	v_mul_hi_u32 v22, v18, s23
	v_add_u32_e32 v21, -1, v18
	v_lshrrev_b32_e32 v22, 15, v22
	v_cvt_f32_u32_e32 v21, v21
	v_mul_u32_u24_e32 v23, 0xadc8, v22
	v_cvt_f32_u32_e32 v19, v19
	v_sub_u32_e32 v18, v18, v23
	v_mul_u32_u24_e32 v22, 0xd47, v22
	v_mul_lo_u32 v18, v18, s24
	v_xor_b32_e32 v23, 0x7fffffff, v22
	v_sub_u32_e32 v24, 0, v22
	v_cmp_lt_u32_e32 vcc, v18, v22
	v_fma_f32 v21, v21, s25, 0
	v_cndmask_b32_e32 v22, v24, v23, vcc
	v_fma_f32 v19, v19, s25, 0
	v_mul_f32_e32 v21, v21, v21
	v_add_u32_e32 v18, v22, v18
	v_fmac_f32_e32 v21, v19, v19
	v_mul_hi_u32 v22, v18, s23
	v_mul_f32_e32 v23, 0x4f800000, v21
	v_lshrrev_b32_e32 v22, 15, v22
	v_cmp_gt_f32_e32 vcc, s26, v21
	v_cndmask_b32_e32 v21, v21, v23, vcc
	v_mul_u32_u24_e32 v23, 0xadc8, v22
	v_add_u32_e32 v19, -1, v18
	v_sqrt_f32_e32 v24, v21
	v_sub_u32_e32 v18, v18, v23
	v_mul_u32_u24_e32 v22, 0xd47, v22
	v_mul_lo_u32 v18, v18, s24
	v_xor_b32_e32 v23, 0x7fffffff, v22
	v_sub_u32_e32 v25, 0, v22
	v_cmp_lt_u32_e64 s[18:19], v18, v22
	v_cndmask_b32_e64 v22, v25, v23, s[18:19]
	v_add_u32_e32 v18, v22, v18
	v_add_u32_e32 v22, -1, v24
	v_add_u32_e32 v23, 1, v24
	v_add_u32_e32 v25, -1, v18
	v_fma_f32 v26, -v22, v24, v21
	v_fma_f32 v27, -v23, v24, v21
	v_cvt_f32_u32_e32 v25, v25
	v_cmp_ge_f32_e64 s[18:19], 0, v26
	v_cvt_f32_u32_e32 v19, v19
	v_cndmask_b32_e64 v22, v24, v22, s[18:19]
	v_cmp_lt_f32_e64 s[18:19], 0, v27
	v_cndmask_b32_e64 v22, v22, v23, s[18:19]
	v_mul_f32_e32 v23, 0x37800000, v22
	v_cndmask_b32_e32 v22, v22, v23, vcc
	v_fma_f32 v23, v25, s25, 0
	v_cmp_class_f32_e32 vcc, v21, v1
	v_fma_f32 v19, v19, s25, 0
	v_cndmask_b32_e32 v21, v22, v21, vcc
	v_mul_f32_e32 v22, v23, v23
	v_add_f32_e32 v20, 1.0, v10
	v_cmp_nge_f32_e32 vcc, 1.0, v21
	v_fmac_f32_e32 v22, v19, v19
	v_cndmask_b32_e32 v10, v20, v10, vcc
	v_mul_f32_e32 v19, 0x4f800000, v22
	v_cmp_gt_f32_e32 vcc, s26, v22
	v_cndmask_b32_e32 v19, v22, v19, vcc
	v_sqrt_f32_e32 v21, v19
	s_add_i32 s22, s22, -2
	v_add_f32_e32 v20, 1.0, v10
	s_cmp_lg_u32 s22, 0
	v_add_u32_e32 v22, -1, v21
	v_add_u32_e32 v23, 1, v21
	v_fma_f32 v24, -v22, v21, v19
	v_fma_f32 v25, -v23, v21, v19
	v_cmp_ge_f32_e64 s[18:19], 0, v24
	v_cndmask_b32_e64 v21, v21, v22, s[18:19]
	v_cmp_lt_f32_e64 s[18:19], 0, v25
	v_cndmask_b32_e64 v21, v21, v23, s[18:19]
	v_mul_f32_e32 v22, 0x37800000, v21
	v_cndmask_b32_e32 v21, v21, v22, vcc
	v_cmp_class_f32_e32 vcc, v19, v1
	v_cndmask_b32_e32 v19, v21, v19, vcc
	v_cmp_nge_f32_e32 vcc, 1.0, v19
	v_cndmask_b32_e32 v10, v20, v10, vcc
	s_cbranch_scc1 .LBB29_213
; %bb.214:
	v_mul_f32_e32 v1, 4.0, v10
	s_mov_b32 s22, 0x461c4000
	v_div_scale_f32 v10, s[18:19], s22, s22, v1
	v_rcp_f32_e32 v18, v10
	v_fma_f32 v19, -v10, v18, 1.0
	v_fmac_f32_e32 v18, v19, v18
	v_div_scale_f32 v19, vcc, v1, s22, v1
	v_mul_f32_e32 v20, v19, v18
	v_fma_f32 v21, -v10, v20, v19
	v_fmac_f32_e32 v20, v21, v18
	v_fma_f32 v10, -v10, v20, v19
	v_div_fmas_f32 v10, v10, v18, v20
	v_div_fixup_f32 v10, v10, s22, v1
.LBB29_215:
	s_or_b64 exec, exec, s[20:21]
	v_add_u32_e32 v1, 0x480, v0
	v_cmp_gt_u32_e64 s[18:19], s39, v1
	s_and_saveexec_b64 s[22:23], s[18:19]
	s_cbranch_execz .LBB29_219
; %bb.216:
	v_add_u32_e32 v1, s38, v1
	v_lshlrev_b32_e32 v11, 12, v1
	s_mov_b32 s20, 0x7ed55d16
	v_add3_u32 v1, v1, v11, s20
	v_lshrrev_b32_e32 v11, 19, v1
	v_xor_b32_e32 v1, v1, v11
	v_xor_b32_e32 v1, 0xc761c23c, v1
	v_lshl_add_u32 v1, v1, 5, v1
	v_mov_b32_e32 v18, 0xaccf6200
	v_add_u32_e32 v11, 0xe9f8cc1d, v1
	v_lshl_add_u32 v1, v1, 9, v18
	v_xor_b32_e32 v1, v11, v1
	v_lshlrev_b32_e32 v11, 3, v1
	s_mov_b32 s20, 0xfd7046c5
	v_add3_u32 v1, v1, v11, s20
	v_xor_b32_sdwa v1, v1, v1 dst_sel:DWORD dst_unused:UNUSED_PAD src0_sel:DWORD src1_sel:WORD_1
	v_xor_b32_e32 v1, 0xb55a4f09, v1
	v_mul_hi_u32 v11, v1, 3
	v_sub_u32_e32 v18, v1, v11
	v_lshrrev_b32_e32 v18, 1, v18
	v_add_u32_e32 v11, v18, v11
	v_lshrrev_b32_e32 v11, 30, v11
	s_brev_b32 s20, -2
	v_mul_lo_u32 v11, v11, s20
	v_sub_u32_e32 v1, v1, v11
	v_max_u32_e32 v18, 1, v1
	s_movk_i32 s24, 0x2710
	v_mov_b32_e32 v11, 0
	s_mov_b32 s25, 0xbc8f1391
	s_mov_b32 s26, 0xbc8f
	s_brev_b32 s27, 12
	s_mov_b32 s28, 0xf800000
	v_mov_b32_e32 v1, 0x260
.LBB29_217:                             ; =>This Inner Loop Header: Depth=1
	v_mul_hi_u32 v19, v18, s25
	v_lshrrev_b32_e32 v19, 15, v19
	v_mul_u32_u24_e32 v21, 0xadc8, v19
	v_sub_u32_e32 v18, v18, v21
	v_mul_u32_u24_e32 v19, 0xd47, v19
	v_mul_lo_u32 v18, v18, s26
	v_xor_b32_e32 v21, 0x7fffffff, v19
	v_sub_u32_e32 v22, 0, v19
	v_cmp_lt_u32_e32 vcc, v18, v19
	v_cndmask_b32_e32 v19, v22, v21, vcc
	v_add_u32_e32 v18, v19, v18
	v_mul_hi_u32 v21, v18, s25
	v_lshrrev_b32_e32 v21, 15, v21
	v_mul_u32_u24_e32 v22, 0xadc8, v21
	v_add_u32_e32 v19, -1, v18
	v_sub_u32_e32 v18, v18, v22
	v_mul_u32_u24_e32 v21, 0xd47, v21
	v_mul_lo_u32 v18, v18, s26
	v_xor_b32_e32 v22, 0x7fffffff, v21
	v_sub_u32_e32 v23, 0, v21
	v_cmp_lt_u32_e32 vcc, v18, v21
	v_cndmask_b32_e32 v21, v23, v22, vcc
	v_add_u32_e32 v18, v21, v18
	v_mul_hi_u32 v22, v18, s25
	v_add_u32_e32 v21, -1, v18
	v_lshrrev_b32_e32 v22, 15, v22
	v_cvt_f32_u32_e32 v21, v21
	v_mul_u32_u24_e32 v23, 0xadc8, v22
	v_cvt_f32_u32_e32 v19, v19
	v_sub_u32_e32 v18, v18, v23
	v_mul_u32_u24_e32 v22, 0xd47, v22
	v_mul_lo_u32 v18, v18, s26
	v_xor_b32_e32 v23, 0x7fffffff, v22
	v_sub_u32_e32 v24, 0, v22
	v_cmp_lt_u32_e32 vcc, v18, v22
	v_fma_f32 v21, v21, s27, 0
	v_cndmask_b32_e32 v22, v24, v23, vcc
	v_fma_f32 v19, v19, s27, 0
	v_mul_f32_e32 v21, v21, v21
	v_add_u32_e32 v18, v22, v18
	v_fmac_f32_e32 v21, v19, v19
	v_mul_hi_u32 v22, v18, s25
	v_mul_f32_e32 v23, 0x4f800000, v21
	v_lshrrev_b32_e32 v22, 15, v22
	v_cmp_gt_f32_e32 vcc, s28, v21
	v_cndmask_b32_e32 v21, v21, v23, vcc
	v_mul_u32_u24_e32 v23, 0xadc8, v22
	v_add_u32_e32 v19, -1, v18
	v_sqrt_f32_e32 v24, v21
	v_sub_u32_e32 v18, v18, v23
	v_mul_u32_u24_e32 v22, 0xd47, v22
	v_mul_lo_u32 v18, v18, s26
	v_xor_b32_e32 v23, 0x7fffffff, v22
	v_sub_u32_e32 v25, 0, v22
	v_cmp_lt_u32_e64 s[20:21], v18, v22
	v_cndmask_b32_e64 v22, v25, v23, s[20:21]
	v_add_u32_e32 v18, v22, v18
	v_add_u32_e32 v22, -1, v24
	v_add_u32_e32 v23, 1, v24
	v_add_u32_e32 v25, -1, v18
	v_fma_f32 v26, -v22, v24, v21
	v_fma_f32 v27, -v23, v24, v21
	v_cvt_f32_u32_e32 v25, v25
	v_cmp_ge_f32_e64 s[20:21], 0, v26
	v_cvt_f32_u32_e32 v19, v19
	v_cndmask_b32_e64 v22, v24, v22, s[20:21]
	v_cmp_lt_f32_e64 s[20:21], 0, v27
	v_cndmask_b32_e64 v22, v22, v23, s[20:21]
	v_mul_f32_e32 v23, 0x37800000, v22
	v_cndmask_b32_e32 v22, v22, v23, vcc
	v_fma_f32 v23, v25, s27, 0
	v_cmp_class_f32_e32 vcc, v21, v1
	v_fma_f32 v19, v19, s27, 0
	v_cndmask_b32_e32 v21, v22, v21, vcc
	v_mul_f32_e32 v22, v23, v23
	v_add_f32_e32 v20, 1.0, v11
	v_cmp_nge_f32_e32 vcc, 1.0, v21
	v_fmac_f32_e32 v22, v19, v19
	v_cndmask_b32_e32 v11, v20, v11, vcc
	v_mul_f32_e32 v19, 0x4f800000, v22
	v_cmp_gt_f32_e32 vcc, s28, v22
	v_cndmask_b32_e32 v19, v22, v19, vcc
	v_sqrt_f32_e32 v21, v19
	s_add_i32 s24, s24, -2
	v_add_f32_e32 v20, 1.0, v11
	s_cmp_lg_u32 s24, 0
	v_add_u32_e32 v22, -1, v21
	v_add_u32_e32 v23, 1, v21
	v_fma_f32 v24, -v22, v21, v19
	v_fma_f32 v25, -v23, v21, v19
	v_cmp_ge_f32_e64 s[20:21], 0, v24
	v_cndmask_b32_e64 v21, v21, v22, s[20:21]
	v_cmp_lt_f32_e64 s[20:21], 0, v25
	v_cndmask_b32_e64 v21, v21, v23, s[20:21]
	v_mul_f32_e32 v22, 0x37800000, v21
	v_cndmask_b32_e32 v21, v21, v22, vcc
	v_cmp_class_f32_e32 vcc, v19, v1
	v_cndmask_b32_e32 v19, v21, v19, vcc
	v_cmp_nge_f32_e32 vcc, 1.0, v19
	v_cndmask_b32_e32 v11, v20, v11, vcc
	s_cbranch_scc1 .LBB29_217
; %bb.218:
	v_mul_f32_e32 v1, 4.0, v11
	s_mov_b32 s24, 0x461c4000
	v_div_scale_f32 v11, s[20:21], s24, s24, v1
	v_rcp_f32_e32 v18, v11
	v_fma_f32 v19, -v11, v18, 1.0
	v_fmac_f32_e32 v18, v19, v18
	v_div_scale_f32 v19, vcc, v1, s24, v1
	v_mul_f32_e32 v20, v19, v18
	v_fma_f32 v21, -v11, v20, v19
	v_fmac_f32_e32 v20, v21, v18
	v_fma_f32 v11, -v11, v20, v19
	v_div_fmas_f32 v11, v11, v18, v20
	v_div_fixup_f32 v11, v11, s24, v1
.LBB29_219:
	s_or_b64 exec, exec, s[22:23]
	v_add_u32_e32 v1, 0x500, v0
	v_cmp_gt_u32_e64 s[20:21], s39, v1
	s_and_saveexec_b64 s[24:25], s[20:21]
	s_cbranch_execz .LBB29_223
; %bb.220:
	v_add_u32_e32 v1, s38, v1
	v_lshlrev_b32_e32 v12, 12, v1
	s_mov_b32 s22, 0x7ed55d16
	v_add3_u32 v1, v1, v12, s22
	v_lshrrev_b32_e32 v12, 19, v1
	v_xor_b32_e32 v1, v1, v12
	v_xor_b32_e32 v1, 0xc761c23c, v1
	v_lshl_add_u32 v1, v1, 5, v1
	v_mov_b32_e32 v18, 0xaccf6200
	v_add_u32_e32 v12, 0xe9f8cc1d, v1
	v_lshl_add_u32 v1, v1, 9, v18
	v_xor_b32_e32 v1, v12, v1
	v_lshlrev_b32_e32 v12, 3, v1
	s_mov_b32 s22, 0xfd7046c5
	v_add3_u32 v1, v1, v12, s22
	v_xor_b32_sdwa v1, v1, v1 dst_sel:DWORD dst_unused:UNUSED_PAD src0_sel:DWORD src1_sel:WORD_1
	v_xor_b32_e32 v1, 0xb55a4f09, v1
	v_mul_hi_u32 v12, v1, 3
	v_sub_u32_e32 v18, v1, v12
	v_lshrrev_b32_e32 v18, 1, v18
	v_add_u32_e32 v12, v18, v12
	v_lshrrev_b32_e32 v12, 30, v12
	s_brev_b32 s22, -2
	v_mul_lo_u32 v12, v12, s22
	v_sub_u32_e32 v1, v1, v12
	v_max_u32_e32 v18, 1, v1
	s_movk_i32 s26, 0x2710
	v_mov_b32_e32 v12, 0
	s_mov_b32 s27, 0xbc8f1391
	s_mov_b32 s28, 0xbc8f
	s_brev_b32 s29, 12
	s_mov_b32 s30, 0xf800000
	v_mov_b32_e32 v1, 0x260
.LBB29_221:                             ; =>This Inner Loop Header: Depth=1
	v_mul_hi_u32 v19, v18, s27
	v_lshrrev_b32_e32 v19, 15, v19
	v_mul_u32_u24_e32 v21, 0xadc8, v19
	v_sub_u32_e32 v18, v18, v21
	v_mul_u32_u24_e32 v19, 0xd47, v19
	v_mul_lo_u32 v18, v18, s28
	v_xor_b32_e32 v21, 0x7fffffff, v19
	v_sub_u32_e32 v22, 0, v19
	v_cmp_lt_u32_e32 vcc, v18, v19
	v_cndmask_b32_e32 v19, v22, v21, vcc
	v_add_u32_e32 v18, v19, v18
	v_mul_hi_u32 v21, v18, s27
	v_lshrrev_b32_e32 v21, 15, v21
	v_mul_u32_u24_e32 v22, 0xadc8, v21
	v_add_u32_e32 v19, -1, v18
	v_sub_u32_e32 v18, v18, v22
	v_mul_u32_u24_e32 v21, 0xd47, v21
	v_mul_lo_u32 v18, v18, s28
	v_xor_b32_e32 v22, 0x7fffffff, v21
	v_sub_u32_e32 v23, 0, v21
	v_cmp_lt_u32_e32 vcc, v18, v21
	v_cndmask_b32_e32 v21, v23, v22, vcc
	v_add_u32_e32 v18, v21, v18
	v_mul_hi_u32 v22, v18, s27
	v_add_u32_e32 v21, -1, v18
	v_lshrrev_b32_e32 v22, 15, v22
	v_cvt_f32_u32_e32 v21, v21
	v_mul_u32_u24_e32 v23, 0xadc8, v22
	v_cvt_f32_u32_e32 v19, v19
	v_sub_u32_e32 v18, v18, v23
	v_mul_u32_u24_e32 v22, 0xd47, v22
	v_mul_lo_u32 v18, v18, s28
	v_xor_b32_e32 v23, 0x7fffffff, v22
	v_sub_u32_e32 v24, 0, v22
	v_cmp_lt_u32_e32 vcc, v18, v22
	v_fma_f32 v21, v21, s29, 0
	v_cndmask_b32_e32 v22, v24, v23, vcc
	v_fma_f32 v19, v19, s29, 0
	v_mul_f32_e32 v21, v21, v21
	v_add_u32_e32 v18, v22, v18
	v_fmac_f32_e32 v21, v19, v19
	v_mul_hi_u32 v22, v18, s27
	v_mul_f32_e32 v23, 0x4f800000, v21
	v_lshrrev_b32_e32 v22, 15, v22
	v_cmp_gt_f32_e32 vcc, s30, v21
	v_cndmask_b32_e32 v21, v21, v23, vcc
	v_mul_u32_u24_e32 v23, 0xadc8, v22
	v_add_u32_e32 v19, -1, v18
	v_sqrt_f32_e32 v24, v21
	v_sub_u32_e32 v18, v18, v23
	v_mul_u32_u24_e32 v22, 0xd47, v22
	v_mul_lo_u32 v18, v18, s28
	v_xor_b32_e32 v23, 0x7fffffff, v22
	v_sub_u32_e32 v25, 0, v22
	v_cmp_lt_u32_e64 s[22:23], v18, v22
	v_cndmask_b32_e64 v22, v25, v23, s[22:23]
	v_add_u32_e32 v18, v22, v18
	v_add_u32_e32 v22, -1, v24
	v_add_u32_e32 v23, 1, v24
	v_add_u32_e32 v25, -1, v18
	v_fma_f32 v26, -v22, v24, v21
	v_fma_f32 v27, -v23, v24, v21
	v_cvt_f32_u32_e32 v25, v25
	v_cmp_ge_f32_e64 s[22:23], 0, v26
	v_cvt_f32_u32_e32 v19, v19
	v_cndmask_b32_e64 v22, v24, v22, s[22:23]
	v_cmp_lt_f32_e64 s[22:23], 0, v27
	v_cndmask_b32_e64 v22, v22, v23, s[22:23]
	v_mul_f32_e32 v23, 0x37800000, v22
	v_cndmask_b32_e32 v22, v22, v23, vcc
	v_fma_f32 v23, v25, s29, 0
	v_cmp_class_f32_e32 vcc, v21, v1
	v_fma_f32 v19, v19, s29, 0
	v_cndmask_b32_e32 v21, v22, v21, vcc
	v_mul_f32_e32 v22, v23, v23
	v_add_f32_e32 v20, 1.0, v12
	v_cmp_nge_f32_e32 vcc, 1.0, v21
	v_fmac_f32_e32 v22, v19, v19
	v_cndmask_b32_e32 v12, v20, v12, vcc
	v_mul_f32_e32 v19, 0x4f800000, v22
	v_cmp_gt_f32_e32 vcc, s30, v22
	v_cndmask_b32_e32 v19, v22, v19, vcc
	v_sqrt_f32_e32 v21, v19
	s_add_i32 s26, s26, -2
	v_add_f32_e32 v20, 1.0, v12
	s_cmp_lg_u32 s26, 0
	v_add_u32_e32 v22, -1, v21
	v_add_u32_e32 v23, 1, v21
	v_fma_f32 v24, -v22, v21, v19
	v_fma_f32 v25, -v23, v21, v19
	v_cmp_ge_f32_e64 s[22:23], 0, v24
	v_cndmask_b32_e64 v21, v21, v22, s[22:23]
	v_cmp_lt_f32_e64 s[22:23], 0, v25
	v_cndmask_b32_e64 v21, v21, v23, s[22:23]
	v_mul_f32_e32 v22, 0x37800000, v21
	v_cndmask_b32_e32 v21, v21, v22, vcc
	v_cmp_class_f32_e32 vcc, v19, v1
	v_cndmask_b32_e32 v19, v21, v19, vcc
	v_cmp_nge_f32_e32 vcc, 1.0, v19
	v_cndmask_b32_e32 v12, v20, v12, vcc
	s_cbranch_scc1 .LBB29_221
; %bb.222:
	v_mul_f32_e32 v1, 4.0, v12
	s_mov_b32 s26, 0x461c4000
	v_div_scale_f32 v12, s[22:23], s26, s26, v1
	v_rcp_f32_e32 v18, v12
	v_fma_f32 v19, -v12, v18, 1.0
	v_fmac_f32_e32 v18, v19, v18
	v_div_scale_f32 v19, vcc, v1, s26, v1
	v_mul_f32_e32 v20, v19, v18
	v_fma_f32 v21, -v12, v20, v19
	v_fmac_f32_e32 v20, v21, v18
	v_fma_f32 v12, -v12, v20, v19
	v_div_fmas_f32 v12, v12, v18, v20
	v_div_fixup_f32 v12, v12, s26, v1
.LBB29_223:
	s_or_b64 exec, exec, s[24:25]
	v_add_u32_e32 v1, 0x580, v0
	v_cmp_gt_u32_e64 s[22:23], s39, v1
	s_and_saveexec_b64 s[26:27], s[22:23]
	s_cbranch_execz .LBB29_227
; %bb.224:
	v_add_u32_e32 v1, s38, v1
	v_lshlrev_b32_e32 v13, 12, v1
	s_mov_b32 s24, 0x7ed55d16
	v_add3_u32 v1, v1, v13, s24
	v_lshrrev_b32_e32 v13, 19, v1
	v_xor_b32_e32 v1, v1, v13
	v_xor_b32_e32 v1, 0xc761c23c, v1
	v_lshl_add_u32 v1, v1, 5, v1
	v_mov_b32_e32 v18, 0xaccf6200
	v_add_u32_e32 v13, 0xe9f8cc1d, v1
	v_lshl_add_u32 v1, v1, 9, v18
	v_xor_b32_e32 v1, v13, v1
	v_lshlrev_b32_e32 v13, 3, v1
	s_mov_b32 s24, 0xfd7046c5
	v_add3_u32 v1, v1, v13, s24
	v_xor_b32_sdwa v1, v1, v1 dst_sel:DWORD dst_unused:UNUSED_PAD src0_sel:DWORD src1_sel:WORD_1
	v_xor_b32_e32 v1, 0xb55a4f09, v1
	v_mul_hi_u32 v13, v1, 3
	v_sub_u32_e32 v18, v1, v13
	v_lshrrev_b32_e32 v18, 1, v18
	v_add_u32_e32 v13, v18, v13
	v_lshrrev_b32_e32 v13, 30, v13
	s_brev_b32 s24, -2
	v_mul_lo_u32 v13, v13, s24
	v_sub_u32_e32 v1, v1, v13
	v_max_u32_e32 v18, 1, v1
	s_movk_i32 s28, 0x2710
	v_mov_b32_e32 v13, 0
	s_mov_b32 s29, 0xbc8f1391
	s_mov_b32 s30, 0xbc8f
	s_brev_b32 s31, 12
	s_mov_b32 s34, 0xf800000
	v_mov_b32_e32 v1, 0x260
.LBB29_225:                             ; =>This Inner Loop Header: Depth=1
	v_mul_hi_u32 v19, v18, s29
	v_lshrrev_b32_e32 v19, 15, v19
	v_mul_u32_u24_e32 v21, 0xadc8, v19
	v_sub_u32_e32 v18, v18, v21
	v_mul_u32_u24_e32 v19, 0xd47, v19
	v_mul_lo_u32 v18, v18, s30
	v_xor_b32_e32 v21, 0x7fffffff, v19
	v_sub_u32_e32 v22, 0, v19
	v_cmp_lt_u32_e32 vcc, v18, v19
	v_cndmask_b32_e32 v19, v22, v21, vcc
	v_add_u32_e32 v18, v19, v18
	v_mul_hi_u32 v21, v18, s29
	v_lshrrev_b32_e32 v21, 15, v21
	v_mul_u32_u24_e32 v22, 0xadc8, v21
	v_add_u32_e32 v19, -1, v18
	v_sub_u32_e32 v18, v18, v22
	v_mul_u32_u24_e32 v21, 0xd47, v21
	v_mul_lo_u32 v18, v18, s30
	v_xor_b32_e32 v22, 0x7fffffff, v21
	v_sub_u32_e32 v23, 0, v21
	v_cmp_lt_u32_e32 vcc, v18, v21
	v_cndmask_b32_e32 v21, v23, v22, vcc
	v_add_u32_e32 v18, v21, v18
	v_mul_hi_u32 v22, v18, s29
	v_add_u32_e32 v21, -1, v18
	v_lshrrev_b32_e32 v22, 15, v22
	v_cvt_f32_u32_e32 v21, v21
	v_mul_u32_u24_e32 v23, 0xadc8, v22
	v_cvt_f32_u32_e32 v19, v19
	v_sub_u32_e32 v18, v18, v23
	v_mul_u32_u24_e32 v22, 0xd47, v22
	v_mul_lo_u32 v18, v18, s30
	v_xor_b32_e32 v23, 0x7fffffff, v22
	v_sub_u32_e32 v24, 0, v22
	v_cmp_lt_u32_e32 vcc, v18, v22
	v_fma_f32 v21, v21, s31, 0
	v_cndmask_b32_e32 v22, v24, v23, vcc
	v_fma_f32 v19, v19, s31, 0
	v_mul_f32_e32 v21, v21, v21
	v_add_u32_e32 v18, v22, v18
	v_fmac_f32_e32 v21, v19, v19
	v_mul_hi_u32 v22, v18, s29
	v_mul_f32_e32 v23, 0x4f800000, v21
	v_lshrrev_b32_e32 v22, 15, v22
	v_cmp_gt_f32_e32 vcc, s34, v21
	v_cndmask_b32_e32 v21, v21, v23, vcc
	v_mul_u32_u24_e32 v23, 0xadc8, v22
	v_add_u32_e32 v19, -1, v18
	v_sqrt_f32_e32 v24, v21
	v_sub_u32_e32 v18, v18, v23
	v_mul_u32_u24_e32 v22, 0xd47, v22
	v_mul_lo_u32 v18, v18, s30
	v_xor_b32_e32 v23, 0x7fffffff, v22
	v_sub_u32_e32 v25, 0, v22
	v_cmp_lt_u32_e64 s[24:25], v18, v22
	v_cndmask_b32_e64 v22, v25, v23, s[24:25]
	v_add_u32_e32 v18, v22, v18
	v_add_u32_e32 v22, -1, v24
	v_add_u32_e32 v23, 1, v24
	v_add_u32_e32 v25, -1, v18
	v_fma_f32 v26, -v22, v24, v21
	v_fma_f32 v27, -v23, v24, v21
	v_cvt_f32_u32_e32 v25, v25
	v_cmp_ge_f32_e64 s[24:25], 0, v26
	v_cvt_f32_u32_e32 v19, v19
	v_cndmask_b32_e64 v22, v24, v22, s[24:25]
	v_cmp_lt_f32_e64 s[24:25], 0, v27
	v_cndmask_b32_e64 v22, v22, v23, s[24:25]
	v_mul_f32_e32 v23, 0x37800000, v22
	v_cndmask_b32_e32 v22, v22, v23, vcc
	v_fma_f32 v23, v25, s31, 0
	v_cmp_class_f32_e32 vcc, v21, v1
	v_fma_f32 v19, v19, s31, 0
	v_cndmask_b32_e32 v21, v22, v21, vcc
	v_mul_f32_e32 v22, v23, v23
	v_add_f32_e32 v20, 1.0, v13
	v_cmp_nge_f32_e32 vcc, 1.0, v21
	v_fmac_f32_e32 v22, v19, v19
	v_cndmask_b32_e32 v13, v20, v13, vcc
	v_mul_f32_e32 v19, 0x4f800000, v22
	v_cmp_gt_f32_e32 vcc, s34, v22
	v_cndmask_b32_e32 v19, v22, v19, vcc
	v_sqrt_f32_e32 v21, v19
	s_add_i32 s28, s28, -2
	v_add_f32_e32 v20, 1.0, v13
	s_cmp_lg_u32 s28, 0
	v_add_u32_e32 v22, -1, v21
	v_add_u32_e32 v23, 1, v21
	v_fma_f32 v24, -v22, v21, v19
	v_fma_f32 v25, -v23, v21, v19
	v_cmp_ge_f32_e64 s[24:25], 0, v24
	v_cndmask_b32_e64 v21, v21, v22, s[24:25]
	v_cmp_lt_f32_e64 s[24:25], 0, v25
	v_cndmask_b32_e64 v21, v21, v23, s[24:25]
	v_mul_f32_e32 v22, 0x37800000, v21
	v_cndmask_b32_e32 v21, v21, v22, vcc
	v_cmp_class_f32_e32 vcc, v19, v1
	v_cndmask_b32_e32 v19, v21, v19, vcc
	v_cmp_nge_f32_e32 vcc, 1.0, v19
	v_cndmask_b32_e32 v13, v20, v13, vcc
	s_cbranch_scc1 .LBB29_225
; %bb.226:
	v_mul_f32_e32 v1, 4.0, v13
	s_mov_b32 s28, 0x461c4000
	v_div_scale_f32 v13, s[24:25], s28, s28, v1
	v_rcp_f32_e32 v18, v13
	v_fma_f32 v19, -v13, v18, 1.0
	v_fmac_f32_e32 v18, v19, v18
	v_div_scale_f32 v19, vcc, v1, s28, v1
	v_mul_f32_e32 v20, v19, v18
	v_fma_f32 v21, -v13, v20, v19
	v_fmac_f32_e32 v20, v21, v18
	v_fma_f32 v13, -v13, v20, v19
	v_div_fmas_f32 v13, v13, v18, v20
	v_div_fixup_f32 v13, v13, s28, v1
.LBB29_227:
	s_or_b64 exec, exec, s[26:27]
	v_add_u32_e32 v1, 0x600, v0
	v_cmp_gt_u32_e64 s[24:25], s39, v1
	s_and_saveexec_b64 s[28:29], s[24:25]
	s_cbranch_execz .LBB29_231
; %bb.228:
	v_add_u32_e32 v1, s38, v1
	v_lshlrev_b32_e32 v14, 12, v1
	s_mov_b32 s26, 0x7ed55d16
	v_add3_u32 v1, v1, v14, s26
	v_lshrrev_b32_e32 v14, 19, v1
	v_xor_b32_e32 v1, v1, v14
	v_xor_b32_e32 v1, 0xc761c23c, v1
	v_lshl_add_u32 v1, v1, 5, v1
	v_mov_b32_e32 v18, 0xaccf6200
	v_add_u32_e32 v14, 0xe9f8cc1d, v1
	v_lshl_add_u32 v1, v1, 9, v18
	v_xor_b32_e32 v1, v14, v1
	v_lshlrev_b32_e32 v14, 3, v1
	s_mov_b32 s26, 0xfd7046c5
	v_add3_u32 v1, v1, v14, s26
	v_xor_b32_sdwa v1, v1, v1 dst_sel:DWORD dst_unused:UNUSED_PAD src0_sel:DWORD src1_sel:WORD_1
	v_xor_b32_e32 v1, 0xb55a4f09, v1
	v_mul_hi_u32 v14, v1, 3
	v_sub_u32_e32 v18, v1, v14
	v_lshrrev_b32_e32 v18, 1, v18
	v_add_u32_e32 v14, v18, v14
	v_lshrrev_b32_e32 v14, 30, v14
	s_brev_b32 s26, -2
	v_mul_lo_u32 v14, v14, s26
	v_sub_u32_e32 v1, v1, v14
	v_max_u32_e32 v18, 1, v1
	s_movk_i32 s30, 0x2710
	v_mov_b32_e32 v14, 0
	s_mov_b32 s31, 0xbc8f1391
	s_mov_b32 s34, 0xbc8f
	s_brev_b32 s35, 12
	s_mov_b32 s36, 0xf800000
	v_mov_b32_e32 v1, 0x260
.LBB29_229:                             ; =>This Inner Loop Header: Depth=1
	v_mul_hi_u32 v19, v18, s31
	v_lshrrev_b32_e32 v19, 15, v19
	v_mul_u32_u24_e32 v21, 0xadc8, v19
	v_sub_u32_e32 v18, v18, v21
	v_mul_u32_u24_e32 v19, 0xd47, v19
	v_mul_lo_u32 v18, v18, s34
	v_xor_b32_e32 v21, 0x7fffffff, v19
	v_sub_u32_e32 v22, 0, v19
	v_cmp_lt_u32_e32 vcc, v18, v19
	v_cndmask_b32_e32 v19, v22, v21, vcc
	v_add_u32_e32 v18, v19, v18
	v_mul_hi_u32 v21, v18, s31
	v_lshrrev_b32_e32 v21, 15, v21
	v_mul_u32_u24_e32 v22, 0xadc8, v21
	v_add_u32_e32 v19, -1, v18
	v_sub_u32_e32 v18, v18, v22
	v_mul_u32_u24_e32 v21, 0xd47, v21
	v_mul_lo_u32 v18, v18, s34
	v_xor_b32_e32 v22, 0x7fffffff, v21
	v_sub_u32_e32 v23, 0, v21
	v_cmp_lt_u32_e32 vcc, v18, v21
	v_cndmask_b32_e32 v21, v23, v22, vcc
	v_add_u32_e32 v18, v21, v18
	v_mul_hi_u32 v22, v18, s31
	v_add_u32_e32 v21, -1, v18
	v_lshrrev_b32_e32 v22, 15, v22
	v_cvt_f32_u32_e32 v21, v21
	v_mul_u32_u24_e32 v23, 0xadc8, v22
	v_cvt_f32_u32_e32 v19, v19
	v_sub_u32_e32 v18, v18, v23
	v_mul_u32_u24_e32 v22, 0xd47, v22
	v_mul_lo_u32 v18, v18, s34
	v_xor_b32_e32 v23, 0x7fffffff, v22
	v_sub_u32_e32 v24, 0, v22
	v_cmp_lt_u32_e32 vcc, v18, v22
	v_fma_f32 v21, v21, s35, 0
	v_cndmask_b32_e32 v22, v24, v23, vcc
	v_fma_f32 v19, v19, s35, 0
	v_mul_f32_e32 v21, v21, v21
	v_add_u32_e32 v18, v22, v18
	v_fmac_f32_e32 v21, v19, v19
	v_mul_hi_u32 v22, v18, s31
	v_mul_f32_e32 v23, 0x4f800000, v21
	v_lshrrev_b32_e32 v22, 15, v22
	v_cmp_gt_f32_e32 vcc, s36, v21
	v_cndmask_b32_e32 v21, v21, v23, vcc
	v_mul_u32_u24_e32 v23, 0xadc8, v22
	v_add_u32_e32 v19, -1, v18
	v_sqrt_f32_e32 v24, v21
	v_sub_u32_e32 v18, v18, v23
	v_mul_u32_u24_e32 v22, 0xd47, v22
	v_mul_lo_u32 v18, v18, s34
	v_xor_b32_e32 v23, 0x7fffffff, v22
	v_sub_u32_e32 v25, 0, v22
	v_cmp_lt_u32_e64 s[26:27], v18, v22
	v_cndmask_b32_e64 v22, v25, v23, s[26:27]
	v_add_u32_e32 v18, v22, v18
	v_add_u32_e32 v22, -1, v24
	v_add_u32_e32 v23, 1, v24
	v_add_u32_e32 v25, -1, v18
	v_fma_f32 v26, -v22, v24, v21
	v_fma_f32 v27, -v23, v24, v21
	v_cvt_f32_u32_e32 v25, v25
	v_cmp_ge_f32_e64 s[26:27], 0, v26
	v_cvt_f32_u32_e32 v19, v19
	v_cndmask_b32_e64 v22, v24, v22, s[26:27]
	v_cmp_lt_f32_e64 s[26:27], 0, v27
	v_cndmask_b32_e64 v22, v22, v23, s[26:27]
	v_mul_f32_e32 v23, 0x37800000, v22
	v_cndmask_b32_e32 v22, v22, v23, vcc
	v_fma_f32 v23, v25, s35, 0
	v_cmp_class_f32_e32 vcc, v21, v1
	v_fma_f32 v19, v19, s35, 0
	v_cndmask_b32_e32 v21, v22, v21, vcc
	v_mul_f32_e32 v22, v23, v23
	v_add_f32_e32 v20, 1.0, v14
	v_cmp_nge_f32_e32 vcc, 1.0, v21
	v_fmac_f32_e32 v22, v19, v19
	v_cndmask_b32_e32 v14, v20, v14, vcc
	v_mul_f32_e32 v19, 0x4f800000, v22
	v_cmp_gt_f32_e32 vcc, s36, v22
	v_cndmask_b32_e32 v19, v22, v19, vcc
	v_sqrt_f32_e32 v21, v19
	s_add_i32 s30, s30, -2
	v_add_f32_e32 v20, 1.0, v14
	s_cmp_lg_u32 s30, 0
	v_add_u32_e32 v22, -1, v21
	v_add_u32_e32 v23, 1, v21
	v_fma_f32 v24, -v22, v21, v19
	v_fma_f32 v25, -v23, v21, v19
	v_cmp_ge_f32_e64 s[26:27], 0, v24
	v_cndmask_b32_e64 v21, v21, v22, s[26:27]
	v_cmp_lt_f32_e64 s[26:27], 0, v25
	v_cndmask_b32_e64 v21, v21, v23, s[26:27]
	v_mul_f32_e32 v22, 0x37800000, v21
	v_cndmask_b32_e32 v21, v21, v22, vcc
	v_cmp_class_f32_e32 vcc, v19, v1
	v_cndmask_b32_e32 v19, v21, v19, vcc
	v_cmp_nge_f32_e32 vcc, 1.0, v19
	v_cndmask_b32_e32 v14, v20, v14, vcc
	s_cbranch_scc1 .LBB29_229
; %bb.230:
	v_mul_f32_e32 v1, 4.0, v14
	s_mov_b32 s30, 0x461c4000
	v_div_scale_f32 v14, s[26:27], s30, s30, v1
	v_rcp_f32_e32 v18, v14
	v_fma_f32 v19, -v14, v18, 1.0
	v_fmac_f32_e32 v18, v19, v18
	v_div_scale_f32 v19, vcc, v1, s30, v1
	v_mul_f32_e32 v20, v19, v18
	v_fma_f32 v21, -v14, v20, v19
	v_fmac_f32_e32 v20, v21, v18
	v_fma_f32 v14, -v14, v20, v19
	v_div_fmas_f32 v14, v14, v18, v20
	v_div_fixup_f32 v14, v14, s30, v1
.LBB29_231:
	s_or_b64 exec, exec, s[28:29]
	v_add_u32_e32 v1, 0x680, v0
	v_cmp_gt_u32_e64 s[26:27], s39, v1
	s_and_saveexec_b64 s[30:31], s[26:27]
	s_cbranch_execz .LBB29_235
; %bb.232:
	v_add_u32_e32 v1, s38, v1
	v_lshlrev_b32_e32 v15, 12, v1
	s_mov_b32 s28, 0x7ed55d16
	v_add3_u32 v1, v1, v15, s28
	v_lshrrev_b32_e32 v15, 19, v1
	v_xor_b32_e32 v1, v1, v15
	v_xor_b32_e32 v1, 0xc761c23c, v1
	v_lshl_add_u32 v1, v1, 5, v1
	v_mov_b32_e32 v18, 0xaccf6200
	v_add_u32_e32 v15, 0xe9f8cc1d, v1
	v_lshl_add_u32 v1, v1, 9, v18
	v_xor_b32_e32 v1, v15, v1
	v_lshlrev_b32_e32 v15, 3, v1
	s_mov_b32 s28, 0xfd7046c5
	v_add3_u32 v1, v1, v15, s28
	v_xor_b32_sdwa v1, v1, v1 dst_sel:DWORD dst_unused:UNUSED_PAD src0_sel:DWORD src1_sel:WORD_1
	v_xor_b32_e32 v1, 0xb55a4f09, v1
	v_mul_hi_u32 v15, v1, 3
	v_sub_u32_e32 v18, v1, v15
	v_lshrrev_b32_e32 v18, 1, v18
	v_add_u32_e32 v15, v18, v15
	v_lshrrev_b32_e32 v15, 30, v15
	s_brev_b32 s28, -2
	v_mul_lo_u32 v15, v15, s28
	v_sub_u32_e32 v1, v1, v15
	v_max_u32_e32 v18, 1, v1
	s_movk_i32 s34, 0x2710
	v_mov_b32_e32 v15, 0
	s_mov_b32 s35, 0xbc8f1391
	s_mov_b32 s36, 0xbc8f
	s_brev_b32 s37, 12
	s_mov_b32 s40, 0xf800000
	v_mov_b32_e32 v1, 0x260
.LBB29_233:                             ; =>This Inner Loop Header: Depth=1
	v_mul_hi_u32 v19, v18, s35
	v_lshrrev_b32_e32 v19, 15, v19
	v_mul_u32_u24_e32 v21, 0xadc8, v19
	v_sub_u32_e32 v18, v18, v21
	v_mul_u32_u24_e32 v19, 0xd47, v19
	v_mul_lo_u32 v18, v18, s36
	v_xor_b32_e32 v21, 0x7fffffff, v19
	v_sub_u32_e32 v22, 0, v19
	v_cmp_lt_u32_e32 vcc, v18, v19
	v_cndmask_b32_e32 v19, v22, v21, vcc
	v_add_u32_e32 v18, v19, v18
	v_mul_hi_u32 v21, v18, s35
	v_lshrrev_b32_e32 v21, 15, v21
	v_mul_u32_u24_e32 v22, 0xadc8, v21
	v_add_u32_e32 v19, -1, v18
	v_sub_u32_e32 v18, v18, v22
	v_mul_u32_u24_e32 v21, 0xd47, v21
	v_mul_lo_u32 v18, v18, s36
	v_xor_b32_e32 v22, 0x7fffffff, v21
	v_sub_u32_e32 v23, 0, v21
	v_cmp_lt_u32_e32 vcc, v18, v21
	v_cndmask_b32_e32 v21, v23, v22, vcc
	v_add_u32_e32 v18, v21, v18
	v_mul_hi_u32 v22, v18, s35
	v_add_u32_e32 v21, -1, v18
	v_lshrrev_b32_e32 v22, 15, v22
	v_cvt_f32_u32_e32 v21, v21
	v_mul_u32_u24_e32 v23, 0xadc8, v22
	v_cvt_f32_u32_e32 v19, v19
	v_sub_u32_e32 v18, v18, v23
	v_mul_u32_u24_e32 v22, 0xd47, v22
	v_mul_lo_u32 v18, v18, s36
	v_xor_b32_e32 v23, 0x7fffffff, v22
	v_sub_u32_e32 v24, 0, v22
	v_cmp_lt_u32_e32 vcc, v18, v22
	v_fma_f32 v21, v21, s37, 0
	v_cndmask_b32_e32 v22, v24, v23, vcc
	v_fma_f32 v19, v19, s37, 0
	v_mul_f32_e32 v21, v21, v21
	v_add_u32_e32 v18, v22, v18
	v_fmac_f32_e32 v21, v19, v19
	v_mul_hi_u32 v22, v18, s35
	v_mul_f32_e32 v23, 0x4f800000, v21
	v_lshrrev_b32_e32 v22, 15, v22
	v_cmp_gt_f32_e32 vcc, s40, v21
	v_cndmask_b32_e32 v21, v21, v23, vcc
	v_mul_u32_u24_e32 v23, 0xadc8, v22
	v_add_u32_e32 v19, -1, v18
	v_sqrt_f32_e32 v24, v21
	v_sub_u32_e32 v18, v18, v23
	v_mul_u32_u24_e32 v22, 0xd47, v22
	v_mul_lo_u32 v18, v18, s36
	v_xor_b32_e32 v23, 0x7fffffff, v22
	v_sub_u32_e32 v25, 0, v22
	v_cmp_lt_u32_e64 s[28:29], v18, v22
	v_cndmask_b32_e64 v22, v25, v23, s[28:29]
	v_add_u32_e32 v18, v22, v18
	v_add_u32_e32 v22, -1, v24
	v_add_u32_e32 v23, 1, v24
	v_add_u32_e32 v25, -1, v18
	v_fma_f32 v26, -v22, v24, v21
	v_fma_f32 v27, -v23, v24, v21
	v_cvt_f32_u32_e32 v25, v25
	v_cmp_ge_f32_e64 s[28:29], 0, v26
	v_cvt_f32_u32_e32 v19, v19
	v_cndmask_b32_e64 v22, v24, v22, s[28:29]
	v_cmp_lt_f32_e64 s[28:29], 0, v27
	v_cndmask_b32_e64 v22, v22, v23, s[28:29]
	v_mul_f32_e32 v23, 0x37800000, v22
	v_cndmask_b32_e32 v22, v22, v23, vcc
	v_fma_f32 v23, v25, s37, 0
	v_cmp_class_f32_e32 vcc, v21, v1
	v_fma_f32 v19, v19, s37, 0
	v_cndmask_b32_e32 v21, v22, v21, vcc
	v_mul_f32_e32 v22, v23, v23
	v_add_f32_e32 v20, 1.0, v15
	v_cmp_nge_f32_e32 vcc, 1.0, v21
	v_fmac_f32_e32 v22, v19, v19
	v_cndmask_b32_e32 v15, v20, v15, vcc
	v_mul_f32_e32 v19, 0x4f800000, v22
	v_cmp_gt_f32_e32 vcc, s40, v22
	v_cndmask_b32_e32 v19, v22, v19, vcc
	v_sqrt_f32_e32 v21, v19
	s_add_i32 s34, s34, -2
	v_add_f32_e32 v20, 1.0, v15
	s_cmp_lg_u32 s34, 0
	v_add_u32_e32 v22, -1, v21
	v_add_u32_e32 v23, 1, v21
	v_fma_f32 v24, -v22, v21, v19
	v_fma_f32 v25, -v23, v21, v19
	v_cmp_ge_f32_e64 s[28:29], 0, v24
	v_cndmask_b32_e64 v21, v21, v22, s[28:29]
	v_cmp_lt_f32_e64 s[28:29], 0, v25
	v_cndmask_b32_e64 v21, v21, v23, s[28:29]
	v_mul_f32_e32 v22, 0x37800000, v21
	v_cndmask_b32_e32 v21, v21, v22, vcc
	v_cmp_class_f32_e32 vcc, v19, v1
	v_cndmask_b32_e32 v19, v21, v19, vcc
	v_cmp_nge_f32_e32 vcc, 1.0, v19
	v_cndmask_b32_e32 v15, v20, v15, vcc
	s_cbranch_scc1 .LBB29_233
; %bb.234:
	v_mul_f32_e32 v1, 4.0, v15
	s_mov_b32 s34, 0x461c4000
	v_div_scale_f32 v15, s[28:29], s34, s34, v1
	v_rcp_f32_e32 v18, v15
	v_fma_f32 v19, -v15, v18, 1.0
	v_fmac_f32_e32 v18, v19, v18
	v_div_scale_f32 v19, vcc, v1, s34, v1
	v_mul_f32_e32 v20, v19, v18
	v_fma_f32 v21, -v15, v20, v19
	v_fmac_f32_e32 v20, v21, v18
	v_fma_f32 v15, -v15, v20, v19
	v_div_fmas_f32 v15, v15, v18, v20
	v_div_fixup_f32 v15, v15, s34, v1
.LBB29_235:
	s_or_b64 exec, exec, s[30:31]
	v_add_u32_e32 v1, 0x700, v0
	v_cmp_gt_u32_e64 s[28:29], s39, v1
	s_and_saveexec_b64 s[34:35], s[28:29]
	s_cbranch_execz .LBB29_239
; %bb.236:
	v_add_u32_e32 v1, s38, v1
	v_lshlrev_b32_e32 v16, 12, v1
	s_mov_b32 s30, 0x7ed55d16
	v_add3_u32 v1, v1, v16, s30
	v_lshrrev_b32_e32 v16, 19, v1
	v_xor_b32_e32 v1, v1, v16
	v_xor_b32_e32 v1, 0xc761c23c, v1
	v_lshl_add_u32 v1, v1, 5, v1
	v_mov_b32_e32 v18, 0xaccf6200
	v_add_u32_e32 v16, 0xe9f8cc1d, v1
	v_lshl_add_u32 v1, v1, 9, v18
	v_xor_b32_e32 v1, v16, v1
	v_lshlrev_b32_e32 v16, 3, v1
	s_mov_b32 s30, 0xfd7046c5
	v_add3_u32 v1, v1, v16, s30
	v_xor_b32_sdwa v1, v1, v1 dst_sel:DWORD dst_unused:UNUSED_PAD src0_sel:DWORD src1_sel:WORD_1
	v_xor_b32_e32 v1, 0xb55a4f09, v1
	v_mul_hi_u32 v16, v1, 3
	v_sub_u32_e32 v18, v1, v16
	v_lshrrev_b32_e32 v18, 1, v18
	v_add_u32_e32 v16, v18, v16
	v_lshrrev_b32_e32 v16, 30, v16
	s_brev_b32 s30, -2
	v_mul_lo_u32 v16, v16, s30
	v_sub_u32_e32 v1, v1, v16
	v_max_u32_e32 v18, 1, v1
	s_movk_i32 s36, 0x2710
	v_mov_b32_e32 v16, 0
	s_mov_b32 s37, 0xbc8f1391
	s_mov_b32 s40, 0xbc8f
	s_brev_b32 s41, 12
	s_mov_b32 s42, 0xf800000
	v_mov_b32_e32 v1, 0x260
.LBB29_237:                             ; =>This Inner Loop Header: Depth=1
	v_mul_hi_u32 v19, v18, s37
	v_lshrrev_b32_e32 v19, 15, v19
	v_mul_u32_u24_e32 v21, 0xadc8, v19
	v_sub_u32_e32 v18, v18, v21
	v_mul_u32_u24_e32 v19, 0xd47, v19
	v_mul_lo_u32 v18, v18, s40
	v_xor_b32_e32 v21, 0x7fffffff, v19
	v_sub_u32_e32 v22, 0, v19
	v_cmp_lt_u32_e32 vcc, v18, v19
	v_cndmask_b32_e32 v19, v22, v21, vcc
	v_add_u32_e32 v18, v19, v18
	v_mul_hi_u32 v21, v18, s37
	v_lshrrev_b32_e32 v21, 15, v21
	v_mul_u32_u24_e32 v22, 0xadc8, v21
	v_add_u32_e32 v19, -1, v18
	v_sub_u32_e32 v18, v18, v22
	v_mul_u32_u24_e32 v21, 0xd47, v21
	v_mul_lo_u32 v18, v18, s40
	v_xor_b32_e32 v22, 0x7fffffff, v21
	v_sub_u32_e32 v23, 0, v21
	v_cmp_lt_u32_e32 vcc, v18, v21
	v_cndmask_b32_e32 v21, v23, v22, vcc
	v_add_u32_e32 v18, v21, v18
	v_mul_hi_u32 v22, v18, s37
	v_add_u32_e32 v21, -1, v18
	v_lshrrev_b32_e32 v22, 15, v22
	v_cvt_f32_u32_e32 v21, v21
	v_mul_u32_u24_e32 v23, 0xadc8, v22
	v_cvt_f32_u32_e32 v19, v19
	v_sub_u32_e32 v18, v18, v23
	v_mul_u32_u24_e32 v22, 0xd47, v22
	v_mul_lo_u32 v18, v18, s40
	v_xor_b32_e32 v23, 0x7fffffff, v22
	v_sub_u32_e32 v24, 0, v22
	v_cmp_lt_u32_e32 vcc, v18, v22
	v_fma_f32 v21, v21, s41, 0
	v_cndmask_b32_e32 v22, v24, v23, vcc
	v_fma_f32 v19, v19, s41, 0
	v_mul_f32_e32 v21, v21, v21
	v_add_u32_e32 v18, v22, v18
	v_fmac_f32_e32 v21, v19, v19
	v_mul_hi_u32 v22, v18, s37
	v_mul_f32_e32 v23, 0x4f800000, v21
	v_lshrrev_b32_e32 v22, 15, v22
	v_cmp_gt_f32_e32 vcc, s42, v21
	v_cndmask_b32_e32 v21, v21, v23, vcc
	v_mul_u32_u24_e32 v23, 0xadc8, v22
	v_add_u32_e32 v19, -1, v18
	v_sqrt_f32_e32 v24, v21
	v_sub_u32_e32 v18, v18, v23
	v_mul_u32_u24_e32 v22, 0xd47, v22
	v_mul_lo_u32 v18, v18, s40
	v_xor_b32_e32 v23, 0x7fffffff, v22
	v_sub_u32_e32 v25, 0, v22
	v_cmp_lt_u32_e64 s[30:31], v18, v22
	v_cndmask_b32_e64 v22, v25, v23, s[30:31]
	v_add_u32_e32 v18, v22, v18
	v_add_u32_e32 v22, -1, v24
	v_add_u32_e32 v23, 1, v24
	v_add_u32_e32 v25, -1, v18
	v_fma_f32 v26, -v22, v24, v21
	v_fma_f32 v27, -v23, v24, v21
	v_cvt_f32_u32_e32 v25, v25
	v_cmp_ge_f32_e64 s[30:31], 0, v26
	v_cvt_f32_u32_e32 v19, v19
	v_cndmask_b32_e64 v22, v24, v22, s[30:31]
	v_cmp_lt_f32_e64 s[30:31], 0, v27
	v_cndmask_b32_e64 v22, v22, v23, s[30:31]
	v_mul_f32_e32 v23, 0x37800000, v22
	v_cndmask_b32_e32 v22, v22, v23, vcc
	v_fma_f32 v23, v25, s41, 0
	v_cmp_class_f32_e32 vcc, v21, v1
	v_fma_f32 v19, v19, s41, 0
	v_cndmask_b32_e32 v21, v22, v21, vcc
	v_mul_f32_e32 v22, v23, v23
	v_add_f32_e32 v20, 1.0, v16
	v_cmp_nge_f32_e32 vcc, 1.0, v21
	v_fmac_f32_e32 v22, v19, v19
	v_cndmask_b32_e32 v16, v20, v16, vcc
	v_mul_f32_e32 v19, 0x4f800000, v22
	v_cmp_gt_f32_e32 vcc, s42, v22
	v_cndmask_b32_e32 v19, v22, v19, vcc
	v_sqrt_f32_e32 v21, v19
	s_add_i32 s36, s36, -2
	v_add_f32_e32 v20, 1.0, v16
	s_cmp_lg_u32 s36, 0
	v_add_u32_e32 v22, -1, v21
	v_add_u32_e32 v23, 1, v21
	v_fma_f32 v24, -v22, v21, v19
	v_fma_f32 v25, -v23, v21, v19
	v_cmp_ge_f32_e64 s[30:31], 0, v24
	v_cndmask_b32_e64 v21, v21, v22, s[30:31]
	v_cmp_lt_f32_e64 s[30:31], 0, v25
	v_cndmask_b32_e64 v21, v21, v23, s[30:31]
	v_mul_f32_e32 v22, 0x37800000, v21
	v_cndmask_b32_e32 v21, v21, v22, vcc
	v_cmp_class_f32_e32 vcc, v19, v1
	v_cndmask_b32_e32 v19, v21, v19, vcc
	v_cmp_nge_f32_e32 vcc, 1.0, v19
	v_cndmask_b32_e32 v16, v20, v16, vcc
	s_cbranch_scc1 .LBB29_237
; %bb.238:
	v_mul_f32_e32 v1, 4.0, v16
	s_mov_b32 s36, 0x461c4000
	v_div_scale_f32 v16, s[30:31], s36, s36, v1
	v_rcp_f32_e32 v18, v16
	v_fma_f32 v19, -v16, v18, 1.0
	v_fmac_f32_e32 v18, v19, v18
	v_div_scale_f32 v19, vcc, v1, s36, v1
	v_mul_f32_e32 v20, v19, v18
	v_fma_f32 v21, -v16, v20, v19
	v_fmac_f32_e32 v20, v21, v18
	v_fma_f32 v16, -v16, v20, v19
	v_div_fmas_f32 v16, v16, v18, v20
	v_div_fixup_f32 v16, v16, s36, v1
.LBB29_239:
	s_or_b64 exec, exec, s[34:35]
	v_add_u32_e32 v1, 0x780, v0
	v_cmp_gt_u32_e64 s[30:31], s39, v1
	s_and_saveexec_b64 s[36:37], s[30:31]
	s_cbranch_execz .LBB29_243
; %bb.240:
	v_add_u32_e32 v1, s38, v1
	v_lshlrev_b32_e32 v17, 12, v1
	s_mov_b32 s34, 0x7ed55d16
	v_add3_u32 v1, v1, v17, s34
	v_lshrrev_b32_e32 v17, 19, v1
	v_xor_b32_e32 v1, v1, v17
	v_xor_b32_e32 v1, 0xc761c23c, v1
	v_lshl_add_u32 v1, v1, 5, v1
	v_mov_b32_e32 v18, 0xaccf6200
	v_add_u32_e32 v17, 0xe9f8cc1d, v1
	v_lshl_add_u32 v1, v1, 9, v18
	v_xor_b32_e32 v1, v17, v1
	v_lshlrev_b32_e32 v17, 3, v1
	s_mov_b32 s34, 0xfd7046c5
	v_add3_u32 v1, v1, v17, s34
	v_xor_b32_sdwa v1, v1, v1 dst_sel:DWORD dst_unused:UNUSED_PAD src0_sel:DWORD src1_sel:WORD_1
	v_xor_b32_e32 v1, 0xb55a4f09, v1
	v_mul_hi_u32 v17, v1, 3
	v_sub_u32_e32 v18, v1, v17
	v_lshrrev_b32_e32 v18, 1, v18
	v_add_u32_e32 v17, v18, v17
	v_lshrrev_b32_e32 v17, 30, v17
	s_brev_b32 s34, -2
	v_mul_lo_u32 v17, v17, s34
	v_sub_u32_e32 v1, v1, v17
	v_max_u32_e32 v18, 1, v1
	s_movk_i32 s38, 0x2710
	v_mov_b32_e32 v17, 0
	s_mov_b32 s40, 0xbc8f1391
	s_mov_b32 s41, 0xbc8f
	s_brev_b32 s42, 12
	s_mov_b32 s43, 0xf800000
	v_mov_b32_e32 v1, 0x260
.LBB29_241:                             ; =>This Inner Loop Header: Depth=1
	v_mul_hi_u32 v19, v18, s40
	v_lshrrev_b32_e32 v19, 15, v19
	v_mul_u32_u24_e32 v21, 0xadc8, v19
	v_sub_u32_e32 v18, v18, v21
	v_mul_u32_u24_e32 v19, 0xd47, v19
	v_mul_lo_u32 v18, v18, s41
	v_xor_b32_e32 v21, 0x7fffffff, v19
	v_sub_u32_e32 v22, 0, v19
	v_cmp_lt_u32_e32 vcc, v18, v19
	v_cndmask_b32_e32 v19, v22, v21, vcc
	v_add_u32_e32 v18, v19, v18
	v_mul_hi_u32 v21, v18, s40
	v_lshrrev_b32_e32 v21, 15, v21
	v_mul_u32_u24_e32 v22, 0xadc8, v21
	v_add_u32_e32 v19, -1, v18
	v_sub_u32_e32 v18, v18, v22
	v_mul_u32_u24_e32 v21, 0xd47, v21
	v_mul_lo_u32 v18, v18, s41
	v_xor_b32_e32 v22, 0x7fffffff, v21
	v_sub_u32_e32 v23, 0, v21
	v_cmp_lt_u32_e32 vcc, v18, v21
	v_cndmask_b32_e32 v21, v23, v22, vcc
	v_add_u32_e32 v18, v21, v18
	v_mul_hi_u32 v22, v18, s40
	v_add_u32_e32 v21, -1, v18
	v_lshrrev_b32_e32 v22, 15, v22
	v_cvt_f32_u32_e32 v21, v21
	v_mul_u32_u24_e32 v23, 0xadc8, v22
	v_cvt_f32_u32_e32 v19, v19
	v_sub_u32_e32 v18, v18, v23
	v_mul_u32_u24_e32 v22, 0xd47, v22
	v_mul_lo_u32 v18, v18, s41
	v_xor_b32_e32 v23, 0x7fffffff, v22
	v_sub_u32_e32 v24, 0, v22
	v_cmp_lt_u32_e32 vcc, v18, v22
	v_fma_f32 v21, v21, s42, 0
	v_cndmask_b32_e32 v22, v24, v23, vcc
	v_fma_f32 v19, v19, s42, 0
	v_mul_f32_e32 v21, v21, v21
	v_add_u32_e32 v18, v22, v18
	v_fmac_f32_e32 v21, v19, v19
	v_mul_hi_u32 v22, v18, s40
	v_mul_f32_e32 v23, 0x4f800000, v21
	v_lshrrev_b32_e32 v22, 15, v22
	v_cmp_gt_f32_e32 vcc, s43, v21
	v_cndmask_b32_e32 v21, v21, v23, vcc
	v_mul_u32_u24_e32 v23, 0xadc8, v22
	v_add_u32_e32 v19, -1, v18
	v_sqrt_f32_e32 v24, v21
	v_sub_u32_e32 v18, v18, v23
	v_mul_u32_u24_e32 v22, 0xd47, v22
	v_mul_lo_u32 v18, v18, s41
	v_xor_b32_e32 v23, 0x7fffffff, v22
	v_sub_u32_e32 v25, 0, v22
	v_cmp_lt_u32_e64 s[34:35], v18, v22
	v_cndmask_b32_e64 v22, v25, v23, s[34:35]
	v_add_u32_e32 v18, v22, v18
	v_add_u32_e32 v22, -1, v24
	v_add_u32_e32 v23, 1, v24
	v_add_u32_e32 v25, -1, v18
	v_fma_f32 v26, -v22, v24, v21
	v_fma_f32 v27, -v23, v24, v21
	v_cvt_f32_u32_e32 v25, v25
	v_cmp_ge_f32_e64 s[34:35], 0, v26
	v_cvt_f32_u32_e32 v19, v19
	v_cndmask_b32_e64 v22, v24, v22, s[34:35]
	v_cmp_lt_f32_e64 s[34:35], 0, v27
	v_cndmask_b32_e64 v22, v22, v23, s[34:35]
	v_mul_f32_e32 v23, 0x37800000, v22
	v_cndmask_b32_e32 v22, v22, v23, vcc
	v_fma_f32 v23, v25, s42, 0
	v_cmp_class_f32_e32 vcc, v21, v1
	v_fma_f32 v19, v19, s42, 0
	v_cndmask_b32_e32 v21, v22, v21, vcc
	v_mul_f32_e32 v22, v23, v23
	v_add_f32_e32 v20, 1.0, v17
	v_cmp_nge_f32_e32 vcc, 1.0, v21
	v_fmac_f32_e32 v22, v19, v19
	v_cndmask_b32_e32 v17, v20, v17, vcc
	v_mul_f32_e32 v19, 0x4f800000, v22
	v_cmp_gt_f32_e32 vcc, s43, v22
	v_cndmask_b32_e32 v19, v22, v19, vcc
	v_sqrt_f32_e32 v21, v19
	s_add_i32 s38, s38, -2
	v_add_f32_e32 v20, 1.0, v17
	s_cmp_lg_u32 s38, 0
	v_add_u32_e32 v22, -1, v21
	v_add_u32_e32 v23, 1, v21
	v_fma_f32 v24, -v22, v21, v19
	v_fma_f32 v25, -v23, v21, v19
	v_cmp_ge_f32_e64 s[34:35], 0, v24
	v_cndmask_b32_e64 v21, v21, v22, s[34:35]
	v_cmp_lt_f32_e64 s[34:35], 0, v25
	v_cndmask_b32_e64 v21, v21, v23, s[34:35]
	v_mul_f32_e32 v22, 0x37800000, v21
	v_cndmask_b32_e32 v21, v21, v22, vcc
	v_cmp_class_f32_e32 vcc, v19, v1
	v_cndmask_b32_e32 v19, v21, v19, vcc
	v_cmp_nge_f32_e32 vcc, 1.0, v19
	v_cndmask_b32_e32 v17, v20, v17, vcc
	s_cbranch_scc1 .LBB29_241
; %bb.242:
	v_mul_f32_e32 v1, 4.0, v17
	s_mov_b32 s38, 0x461c4000
	v_div_scale_f32 v17, s[34:35], s38, s38, v1
	v_rcp_f32_e32 v18, v17
	v_fma_f32 v19, -v17, v18, 1.0
	v_fmac_f32_e32 v18, v19, v18
	v_div_scale_f32 v19, vcc, v1, s38, v1
	v_mul_f32_e32 v20, v19, v18
	v_fma_f32 v21, -v17, v20, v19
	v_fmac_f32_e32 v20, v21, v18
	v_fma_f32 v17, -v17, v20, v19
	v_div_fmas_f32 v17, v17, v18, v20
	v_div_fixup_f32 v17, v17, s38, v1
.LBB29_243:
	s_or_b64 exec, exec, s[36:37]
	v_add_f32_e32 v1, v2, v3
	v_cndmask_b32_e64 v1, v2, v1, s[0:1]
	v_add_f32_e32 v2, v4, v1
	v_cndmask_b32_e64 v1, v1, v2, s[2:3]
	;; [unrolled: 2-line block ×15, first 2 shown]
	v_mbcnt_lo_u32_b32 v1, -1, 0
	v_mbcnt_hi_u32_b32 v1, -1, v1
	v_and_b32_e32 v3, 63, v1
	v_cmp_ne_u32_e32 vcc, 63, v3
	v_addc_co_u32_e32 v4, vcc, 0, v1, vcc
	v_lshlrev_b32_e32 v4, 2, v4
	ds_bpermute_b32 v4, v4, v2
	s_min_u32 s2, s39, 0x80
	v_and_b32_e32 v5, 0x3c0, v0
	v_sub_u32_e64 v5, s2, v5 clamp
	v_add_u32_e32 v6, 1, v3
	v_cmp_gt_u32_e64 s[0:1], 62, v3
	v_cmp_lt_u32_e32 vcc, v6, v5
	v_cndmask_b32_e64 v6, 0, 1, s[0:1]
	s_waitcnt lgkmcnt(0)
	v_add_f32_e32 v4, v2, v4
	v_lshlrev_b32_e32 v6, 1, v6
	v_cndmask_b32_e32 v4, v2, v4, vcc
	v_add_lshl_u32 v6, v6, v1, 2
	ds_bpermute_b32 v6, v6, v4
	v_add_u32_e32 v7, 2, v3
	v_cmp_lt_u32_e64 s[0:1], v7, v5
	v_add_u32_e32 v7, 4, v3
	s_waitcnt lgkmcnt(0)
	v_add_f32_e32 v6, v4, v6
	v_cndmask_b32_e64 v4, v4, v6, s[0:1]
	v_cmp_gt_u32_e64 s[0:1], 60, v3
	v_cndmask_b32_e64 v6, 0, 1, s[0:1]
	v_lshlrev_b32_e32 v6, 2, v6
	v_add_lshl_u32 v6, v6, v1, 2
	ds_bpermute_b32 v6, v6, v4
	v_cmp_lt_u32_e64 s[0:1], v7, v5
	v_add_u32_e32 v7, 8, v3
	s_waitcnt lgkmcnt(0)
	v_add_f32_e32 v6, v4, v6
	v_cndmask_b32_e64 v4, v4, v6, s[0:1]
	v_cmp_gt_u32_e64 s[0:1], 56, v3
	v_cndmask_b32_e64 v6, 0, 1, s[0:1]
	v_lshlrev_b32_e32 v6, 3, v6
	v_add_lshl_u32 v6, v6, v1, 2
	ds_bpermute_b32 v6, v6, v4
	;; [unrolled: 10-line block ×3, first 2 shown]
	v_cmp_lt_u32_e64 s[0:1], v7, v5
	s_waitcnt lgkmcnt(0)
	v_add_f32_e32 v6, v4, v6
	v_cndmask_b32_e64 v4, v4, v6, s[0:1]
	v_cmp_gt_u32_e64 s[0:1], 32, v3
	v_cndmask_b32_e64 v6, 0, 1, s[0:1]
	v_lshlrev_b32_e32 v6, 5, v6
	v_add_lshl_u32 v6, v6, v1, 2
	ds_bpermute_b32 v6, v6, v4
	v_add_u32_e32 v3, 32, v3
	v_cmp_lt_u32_e64 s[0:1], v3, v5
	s_waitcnt lgkmcnt(0)
	v_add_f32_e32 v6, v4, v6
	v_cndmask_b32_e64 v3, v4, v6, s[0:1]
	v_cndmask_b32_e32 v2, v2, v3, vcc
	v_cmp_eq_u32_e32 vcc, 0, v1
	s_and_saveexec_b64 s[0:1], vcc
	s_cbranch_execz .LBB29_245
; %bb.244:
	v_lshrrev_b32_e32 v3, 4, v0
	v_and_b32_e32 v3, 0xffffffc, v3
	ds_write_b32 v3, v2 offset:48
.LBB29_245:
	s_or_b64 exec, exec, s[0:1]
	v_cmp_gt_u32_e32 vcc, 2, v0
	s_waitcnt lgkmcnt(0)
	s_barrier
	s_and_saveexec_b64 s[0:1], vcc
	s_cbranch_execz .LBB29_247
; %bb.246:
	v_lshlrev_b32_e32 v2, 2, v1
	ds_read_b32 v3, v2 offset:48
	v_or_b32_e32 v2, 4, v2
	s_add_i32 s2, s2, 63
	v_and_b32_e32 v1, 1, v1
	s_lshr_b32 s2, s2, 6
	s_waitcnt lgkmcnt(0)
	ds_bpermute_b32 v2, v2, v3
	v_add_u32_e32 v1, 1, v1
	v_cmp_gt_u32_e32 vcc, s2, v1
	s_waitcnt lgkmcnt(0)
	v_add_f32_e32 v2, v3, v2
	v_cndmask_b32_e32 v2, v3, v2, vcc
.LBB29_247:
	s_or_b64 exec, exec, s[0:1]
.LBB29_248:
	v_cmp_eq_u32_e32 vcc, 0, v0
	s_and_saveexec_b64 s[0:1], vcc
	s_cbranch_execz .LBB29_250
; %bb.249:
	s_cmp_eq_u64 s[68:69], 0
	s_cselect_b64 vcc, -1, 0
	s_lshl_b64 s[2:3], s[6:7], 2
	v_add_f32_e32 v1, s33, v2
	v_mov_b32_e32 v2, s33
	s_add_u32 s2, s70, s2
	v_cndmask_b32_e32 v1, v1, v2, vcc
	s_addc_u32 s3, s71, s3
	v_mov_b32_e32 v2, 0
	global_store_dword v2, v1, s[2:3]
.LBB29_250:
	s_or_b64 exec, exec, s[0:1]
	s_cmp_eq_u32 s72, 32
	s_cselect_b64 s[18:19], -1, 0
	s_and_b64 vcc, exec, s[18:19]
	s_cbranch_vccz .LBB29_139
.LBB29_251:
	s_lshl_b32 s2, s6, 12
	s_lshr_b64 s[0:1], s[68:69], 12
	s_add_i32 s80, s73, s2
	s_cmp_lg_u64 s[0:1], s[6:7]
	s_cbranch_scc0 .LBB29_321
; %bb.252:
	v_add_u32_e32 v2, s80, v0
	v_lshlrev_b32_e32 v1, 12, v2
	s_mov_b32 s0, 0x7ed55d16
	v_add3_u32 v1, v2, v1, s0
	v_lshrrev_b32_e32 v3, 19, v1
	v_xor_b32_e32 v1, v1, v3
	v_xor_b32_e32 v1, 0xc761c23c, v1
	v_lshl_add_u32 v1, v1, 5, v1
	v_mov_b32_e32 v4, 0xaccf6200
	v_add_u32_e32 v3, 0xe9f8cc1d, v1
	v_lshl_add_u32 v1, v1, 9, v4
	v_xor_b32_e32 v1, v3, v1
	v_lshlrev_b32_e32 v3, 3, v1
	s_mov_b32 s0, 0xfd7046c5
	v_add3_u32 v1, v1, v3, s0
	v_xor_b32_sdwa v1, v1, v1 dst_sel:DWORD dst_unused:UNUSED_PAD src0_sel:DWORD src1_sel:WORD_1
	v_xor_b32_e32 v1, 0xb55a4f09, v1
	v_mul_hi_u32 v3, v1, 3
	v_sub_u32_e32 v4, v1, v3
	v_lshrrev_b32_e32 v4, 1, v4
	v_add_u32_e32 v3, v4, v3
	v_lshrrev_b32_e32 v3, 30, v3
	s_brev_b32 s0, -2
	v_mul_lo_u32 v3, v3, s0
	v_sub_u32_e32 v1, v1, v3
	v_max_u32_e32 v4, 1, v1
	s_movk_i32 s3, 0x2710
	v_mov_b32_e32 v1, 0
	s_mov_b32 s4, 0xbc8f1391
	s_mov_b32 s5, 0xbc8f
	s_brev_b32 s8, 12
	s_mov_b32 s9, 0xf800000
	v_mov_b32_e32 v3, 0x260
.LBB29_253:                             ; =>This Inner Loop Header: Depth=1
	v_mul_hi_u32 v5, v4, s4
	v_lshrrev_b32_e32 v5, 15, v5
	v_mul_u32_u24_e32 v7, 0xadc8, v5
	v_sub_u32_e32 v4, v4, v7
	v_mul_u32_u24_e32 v5, 0xd47, v5
	v_mul_lo_u32 v4, v4, s5
	v_xor_b32_e32 v7, 0x7fffffff, v5
	v_sub_u32_e32 v8, 0, v5
	v_cmp_lt_u32_e32 vcc, v4, v5
	v_cndmask_b32_e32 v5, v8, v7, vcc
	v_add_u32_e32 v4, v5, v4
	v_mul_hi_u32 v7, v4, s4
	v_lshrrev_b32_e32 v7, 15, v7
	v_mul_u32_u24_e32 v8, 0xadc8, v7
	v_add_u32_e32 v5, -1, v4
	v_sub_u32_e32 v4, v4, v8
	v_mul_u32_u24_e32 v7, 0xd47, v7
	v_mul_lo_u32 v4, v4, s5
	v_xor_b32_e32 v8, 0x7fffffff, v7
	v_sub_u32_e32 v9, 0, v7
	v_cmp_lt_u32_e32 vcc, v4, v7
	v_cndmask_b32_e32 v7, v9, v8, vcc
	v_add_u32_e32 v4, v7, v4
	v_mul_hi_u32 v8, v4, s4
	v_add_u32_e32 v7, -1, v4
	v_lshrrev_b32_e32 v8, 15, v8
	v_cvt_f32_u32_e32 v7, v7
	v_mul_u32_u24_e32 v9, 0xadc8, v8
	v_cvt_f32_u32_e32 v5, v5
	v_sub_u32_e32 v4, v4, v9
	v_mul_u32_u24_e32 v8, 0xd47, v8
	v_mul_lo_u32 v4, v4, s5
	v_xor_b32_e32 v9, 0x7fffffff, v8
	v_sub_u32_e32 v10, 0, v8
	v_cmp_lt_u32_e32 vcc, v4, v8
	v_fma_f32 v7, v7, s8, 0
	v_cndmask_b32_e32 v8, v10, v9, vcc
	v_fma_f32 v5, v5, s8, 0
	v_mul_f32_e32 v7, v7, v7
	v_add_u32_e32 v4, v8, v4
	v_fmac_f32_e32 v7, v5, v5
	v_mul_hi_u32 v8, v4, s4
	v_mul_f32_e32 v9, 0x4f800000, v7
	v_lshrrev_b32_e32 v8, 15, v8
	v_cmp_gt_f32_e32 vcc, s9, v7
	v_cndmask_b32_e32 v7, v7, v9, vcc
	v_mul_u32_u24_e32 v9, 0xadc8, v8
	v_add_u32_e32 v5, -1, v4
	v_sqrt_f32_e32 v10, v7
	v_sub_u32_e32 v4, v4, v9
	v_mul_u32_u24_e32 v8, 0xd47, v8
	v_mul_lo_u32 v4, v4, s5
	v_xor_b32_e32 v9, 0x7fffffff, v8
	v_sub_u32_e32 v11, 0, v8
	v_cmp_lt_u32_e64 s[0:1], v4, v8
	v_cndmask_b32_e64 v8, v11, v9, s[0:1]
	v_add_u32_e32 v4, v8, v4
	v_add_u32_e32 v8, -1, v10
	v_add_u32_e32 v9, 1, v10
	v_add_u32_e32 v11, -1, v4
	v_fma_f32 v12, -v8, v10, v7
	v_fma_f32 v13, -v9, v10, v7
	v_cvt_f32_u32_e32 v11, v11
	v_cmp_ge_f32_e64 s[0:1], 0, v12
	v_cvt_f32_u32_e32 v5, v5
	v_cndmask_b32_e64 v8, v10, v8, s[0:1]
	v_cmp_lt_f32_e64 s[0:1], 0, v13
	v_cndmask_b32_e64 v8, v8, v9, s[0:1]
	v_mul_f32_e32 v9, 0x37800000, v8
	v_cndmask_b32_e32 v8, v8, v9, vcc
	v_fma_f32 v9, v11, s8, 0
	v_cmp_class_f32_e32 vcc, v7, v3
	v_fma_f32 v5, v5, s8, 0
	v_cndmask_b32_e32 v7, v8, v7, vcc
	v_mul_f32_e32 v8, v9, v9
	v_add_f32_e32 v6, 1.0, v1
	v_cmp_nge_f32_e32 vcc, 1.0, v7
	v_fmac_f32_e32 v8, v5, v5
	v_cndmask_b32_e32 v1, v6, v1, vcc
	v_mul_f32_e32 v5, 0x4f800000, v8
	v_cmp_gt_f32_e32 vcc, s9, v8
	v_cndmask_b32_e32 v5, v8, v5, vcc
	v_sqrt_f32_e32 v7, v5
	s_add_i32 s3, s3, -2
	v_add_f32_e32 v6, 1.0, v1
	s_cmp_lg_u32 s3, 0
	v_add_u32_e32 v8, -1, v7
	v_add_u32_e32 v9, 1, v7
	v_fma_f32 v10, -v8, v7, v5
	v_fma_f32 v11, -v9, v7, v5
	v_cmp_ge_f32_e64 s[0:1], 0, v10
	v_cndmask_b32_e64 v7, v7, v8, s[0:1]
	v_cmp_lt_f32_e64 s[0:1], 0, v11
	v_cndmask_b32_e64 v7, v7, v9, s[0:1]
	v_mul_f32_e32 v8, 0x37800000, v7
	v_cndmask_b32_e32 v7, v7, v8, vcc
	v_cmp_class_f32_e32 vcc, v5, v3
	v_cndmask_b32_e32 v5, v7, v5, vcc
	v_cmp_nge_f32_e32 vcc, 1.0, v5
	v_cndmask_b32_e32 v1, v6, v1, vcc
	s_cbranch_scc1 .LBB29_253
; %bb.254:
	v_lshl_add_u32 v5, v2, 12, v2
	v_add_u32_e32 v2, 0x7edd5d96, v5
	v_lshrrev_b32_e32 v3, 19, v2
	v_xor_b32_e32 v2, v2, v3
	v_xor_b32_e32 v2, 0xc761c23c, v2
	v_lshl_add_u32 v2, v2, 5, v2
	v_mov_b32_e32 v4, 0xaccf6200
	v_add_u32_e32 v3, 0xe9f8cc1d, v2
	v_lshl_add_u32 v2, v2, 9, v4
	v_xor_b32_e32 v2, v3, v2
	v_lshlrev_b32_e32 v3, 3, v2
	s_mov_b32 s0, 0xfd7046c5
	v_add3_u32 v2, v2, v3, s0
	v_xor_b32_sdwa v2, v2, v2 dst_sel:DWORD dst_unused:UNUSED_PAD src0_sel:DWORD src1_sel:WORD_1
	v_xor_b32_e32 v2, 0xb55a4f09, v2
	v_mul_hi_u32 v3, v2, 3
	v_sub_u32_e32 v4, v2, v3
	v_lshrrev_b32_e32 v4, 1, v4
	v_add_u32_e32 v3, v4, v3
	v_lshrrev_b32_e32 v3, 30, v3
	s_brev_b32 s0, -2
	v_mul_lo_u32 v3, v3, s0
	v_sub_u32_e32 v2, v2, v3
	v_max_u32_e32 v4, 1, v2
	s_movk_i32 s3, 0x2710
	v_mov_b32_e32 v2, 0
	s_mov_b32 s4, 0xbc8f1391
	s_mov_b32 s5, 0xbc8f
	s_brev_b32 s8, 12
	s_mov_b32 s9, 0xf800000
	v_mov_b32_e32 v3, 0x260
.LBB29_255:                             ; =>This Inner Loop Header: Depth=1
	v_mul_hi_u32 v6, v4, s4
	v_lshrrev_b32_e32 v6, 15, v6
	v_mul_u32_u24_e32 v8, 0xadc8, v6
	v_sub_u32_e32 v4, v4, v8
	v_mul_u32_u24_e32 v6, 0xd47, v6
	v_mul_lo_u32 v4, v4, s5
	v_xor_b32_e32 v8, 0x7fffffff, v6
	v_sub_u32_e32 v9, 0, v6
	v_cmp_lt_u32_e32 vcc, v4, v6
	v_cndmask_b32_e32 v6, v9, v8, vcc
	v_add_u32_e32 v4, v6, v4
	v_mul_hi_u32 v8, v4, s4
	v_lshrrev_b32_e32 v8, 15, v8
	v_mul_u32_u24_e32 v9, 0xadc8, v8
	v_add_u32_e32 v6, -1, v4
	v_sub_u32_e32 v4, v4, v9
	v_mul_u32_u24_e32 v8, 0xd47, v8
	v_mul_lo_u32 v4, v4, s5
	v_xor_b32_e32 v9, 0x7fffffff, v8
	v_sub_u32_e32 v10, 0, v8
	v_cmp_lt_u32_e32 vcc, v4, v8
	v_cndmask_b32_e32 v8, v10, v9, vcc
	v_add_u32_e32 v4, v8, v4
	v_mul_hi_u32 v9, v4, s4
	v_add_u32_e32 v8, -1, v4
	v_lshrrev_b32_e32 v9, 15, v9
	v_cvt_f32_u32_e32 v8, v8
	v_mul_u32_u24_e32 v10, 0xadc8, v9
	v_cvt_f32_u32_e32 v6, v6
	v_sub_u32_e32 v4, v4, v10
	v_mul_u32_u24_e32 v9, 0xd47, v9
	v_mul_lo_u32 v4, v4, s5
	v_xor_b32_e32 v10, 0x7fffffff, v9
	v_sub_u32_e32 v11, 0, v9
	v_cmp_lt_u32_e32 vcc, v4, v9
	v_fma_f32 v8, v8, s8, 0
	v_cndmask_b32_e32 v9, v11, v10, vcc
	v_fma_f32 v6, v6, s8, 0
	v_mul_f32_e32 v8, v8, v8
	v_add_u32_e32 v4, v9, v4
	v_fmac_f32_e32 v8, v6, v6
	v_mul_hi_u32 v9, v4, s4
	v_mul_f32_e32 v10, 0x4f800000, v8
	v_lshrrev_b32_e32 v9, 15, v9
	v_cmp_gt_f32_e32 vcc, s9, v8
	v_cndmask_b32_e32 v8, v8, v10, vcc
	v_mul_u32_u24_e32 v10, 0xadc8, v9
	v_add_u32_e32 v6, -1, v4
	v_sqrt_f32_e32 v11, v8
	v_sub_u32_e32 v4, v4, v10
	v_mul_u32_u24_e32 v9, 0xd47, v9
	v_mul_lo_u32 v4, v4, s5
	v_xor_b32_e32 v10, 0x7fffffff, v9
	v_sub_u32_e32 v12, 0, v9
	v_cmp_lt_u32_e64 s[0:1], v4, v9
	v_cndmask_b32_e64 v9, v12, v10, s[0:1]
	v_add_u32_e32 v4, v9, v4
	v_add_u32_e32 v9, -1, v11
	v_add_u32_e32 v10, 1, v11
	v_add_u32_e32 v12, -1, v4
	v_fma_f32 v13, -v9, v11, v8
	v_fma_f32 v14, -v10, v11, v8
	v_cvt_f32_u32_e32 v12, v12
	v_cmp_ge_f32_e64 s[0:1], 0, v13
	v_cvt_f32_u32_e32 v6, v6
	v_cndmask_b32_e64 v9, v11, v9, s[0:1]
	v_cmp_lt_f32_e64 s[0:1], 0, v14
	v_cndmask_b32_e64 v9, v9, v10, s[0:1]
	v_mul_f32_e32 v10, 0x37800000, v9
	v_cndmask_b32_e32 v9, v9, v10, vcc
	v_fma_f32 v10, v12, s8, 0
	v_cmp_class_f32_e32 vcc, v8, v3
	v_fma_f32 v6, v6, s8, 0
	v_cndmask_b32_e32 v8, v9, v8, vcc
	v_mul_f32_e32 v9, v10, v10
	v_add_f32_e32 v7, 1.0, v2
	v_cmp_nge_f32_e32 vcc, 1.0, v8
	v_fmac_f32_e32 v9, v6, v6
	v_cndmask_b32_e32 v2, v7, v2, vcc
	v_mul_f32_e32 v6, 0x4f800000, v9
	v_cmp_gt_f32_e32 vcc, s9, v9
	v_cndmask_b32_e32 v6, v9, v6, vcc
	v_sqrt_f32_e32 v8, v6
	s_add_i32 s3, s3, -2
	v_add_f32_e32 v7, 1.0, v2
	s_cmp_lg_u32 s3, 0
	v_add_u32_e32 v9, -1, v8
	v_add_u32_e32 v10, 1, v8
	v_fma_f32 v11, -v9, v8, v6
	v_fma_f32 v12, -v10, v8, v6
	v_cmp_ge_f32_e64 s[0:1], 0, v11
	v_cndmask_b32_e64 v8, v8, v9, s[0:1]
	v_cmp_lt_f32_e64 s[0:1], 0, v12
	v_cndmask_b32_e64 v8, v8, v10, s[0:1]
	v_mul_f32_e32 v9, 0x37800000, v8
	v_cndmask_b32_e32 v8, v8, v9, vcc
	v_cmp_class_f32_e32 vcc, v6, v3
	v_cndmask_b32_e32 v6, v8, v6, vcc
	v_cmp_nge_f32_e32 vcc, 1.0, v6
	v_cndmask_b32_e32 v2, v7, v2, vcc
	s_cbranch_scc1 .LBB29_255
; %bb.256:
	v_add_u32_e32 v3, 0x7ee55e16, v5
	v_lshrrev_b32_e32 v4, 19, v3
	v_xor_b32_e32 v3, v3, v4
	v_xor_b32_e32 v3, 0xc761c23c, v3
	v_lshl_add_u32 v3, v3, 5, v3
	v_mov_b32_e32 v6, 0xaccf6200
	v_add_u32_e32 v4, 0xe9f8cc1d, v3
	v_lshl_add_u32 v3, v3, 9, v6
	v_xor_b32_e32 v3, v4, v3
	v_lshlrev_b32_e32 v4, 3, v3
	s_mov_b32 s0, 0xfd7046c5
	v_add3_u32 v3, v3, v4, s0
	v_xor_b32_sdwa v3, v3, v3 dst_sel:DWORD dst_unused:UNUSED_PAD src0_sel:DWORD src1_sel:WORD_1
	v_xor_b32_e32 v3, 0xb55a4f09, v3
	v_mul_hi_u32 v4, v3, 3
	v_sub_u32_e32 v6, v3, v4
	v_lshrrev_b32_e32 v6, 1, v6
	v_add_u32_e32 v4, v6, v4
	v_lshrrev_b32_e32 v4, 30, v4
	s_brev_b32 s0, -2
	v_mul_lo_u32 v4, v4, s0
	v_sub_u32_e32 v3, v3, v4
	v_max_u32_e32 v6, 1, v3
	s_movk_i32 s3, 0x2710
	v_mov_b32_e32 v3, 0
	s_mov_b32 s4, 0xbc8f1391
	s_mov_b32 s5, 0xbc8f
	s_brev_b32 s8, 12
	s_mov_b32 s9, 0xf800000
	v_mov_b32_e32 v4, 0x260
.LBB29_257:                             ; =>This Inner Loop Header: Depth=1
	v_mul_hi_u32 v7, v6, s4
	v_lshrrev_b32_e32 v7, 15, v7
	v_mul_u32_u24_e32 v9, 0xadc8, v7
	v_sub_u32_e32 v6, v6, v9
	v_mul_u32_u24_e32 v7, 0xd47, v7
	v_mul_lo_u32 v6, v6, s5
	v_xor_b32_e32 v9, 0x7fffffff, v7
	v_sub_u32_e32 v10, 0, v7
	v_cmp_lt_u32_e32 vcc, v6, v7
	v_cndmask_b32_e32 v7, v10, v9, vcc
	v_add_u32_e32 v6, v7, v6
	v_mul_hi_u32 v9, v6, s4
	v_lshrrev_b32_e32 v9, 15, v9
	v_mul_u32_u24_e32 v10, 0xadc8, v9
	v_add_u32_e32 v7, -1, v6
	v_sub_u32_e32 v6, v6, v10
	v_mul_u32_u24_e32 v9, 0xd47, v9
	v_mul_lo_u32 v6, v6, s5
	v_xor_b32_e32 v10, 0x7fffffff, v9
	v_sub_u32_e32 v11, 0, v9
	v_cmp_lt_u32_e32 vcc, v6, v9
	v_cndmask_b32_e32 v9, v11, v10, vcc
	v_add_u32_e32 v6, v9, v6
	v_mul_hi_u32 v10, v6, s4
	v_add_u32_e32 v9, -1, v6
	v_lshrrev_b32_e32 v10, 15, v10
	v_cvt_f32_u32_e32 v9, v9
	v_mul_u32_u24_e32 v11, 0xadc8, v10
	v_cvt_f32_u32_e32 v7, v7
	v_sub_u32_e32 v6, v6, v11
	v_mul_u32_u24_e32 v10, 0xd47, v10
	v_mul_lo_u32 v6, v6, s5
	v_xor_b32_e32 v11, 0x7fffffff, v10
	v_sub_u32_e32 v12, 0, v10
	v_cmp_lt_u32_e32 vcc, v6, v10
	v_fma_f32 v9, v9, s8, 0
	v_cndmask_b32_e32 v10, v12, v11, vcc
	v_fma_f32 v7, v7, s8, 0
	v_mul_f32_e32 v9, v9, v9
	v_add_u32_e32 v6, v10, v6
	v_fmac_f32_e32 v9, v7, v7
	v_mul_hi_u32 v10, v6, s4
	v_mul_f32_e32 v11, 0x4f800000, v9
	v_lshrrev_b32_e32 v10, 15, v10
	v_cmp_gt_f32_e32 vcc, s9, v9
	v_cndmask_b32_e32 v9, v9, v11, vcc
	v_mul_u32_u24_e32 v11, 0xadc8, v10
	v_add_u32_e32 v7, -1, v6
	v_sqrt_f32_e32 v12, v9
	v_sub_u32_e32 v6, v6, v11
	v_mul_u32_u24_e32 v10, 0xd47, v10
	v_mul_lo_u32 v6, v6, s5
	v_xor_b32_e32 v11, 0x7fffffff, v10
	v_sub_u32_e32 v13, 0, v10
	v_cmp_lt_u32_e64 s[0:1], v6, v10
	v_cndmask_b32_e64 v10, v13, v11, s[0:1]
	v_add_u32_e32 v6, v10, v6
	v_add_u32_e32 v10, -1, v12
	v_add_u32_e32 v11, 1, v12
	v_add_u32_e32 v13, -1, v6
	v_fma_f32 v14, -v10, v12, v9
	v_fma_f32 v15, -v11, v12, v9
	v_cvt_f32_u32_e32 v13, v13
	v_cmp_ge_f32_e64 s[0:1], 0, v14
	v_cvt_f32_u32_e32 v7, v7
	v_cndmask_b32_e64 v10, v12, v10, s[0:1]
	v_cmp_lt_f32_e64 s[0:1], 0, v15
	v_cndmask_b32_e64 v10, v10, v11, s[0:1]
	v_mul_f32_e32 v11, 0x37800000, v10
	v_cndmask_b32_e32 v10, v10, v11, vcc
	v_fma_f32 v11, v13, s8, 0
	v_cmp_class_f32_e32 vcc, v9, v4
	v_fma_f32 v7, v7, s8, 0
	v_cndmask_b32_e32 v9, v10, v9, vcc
	v_mul_f32_e32 v10, v11, v11
	v_add_f32_e32 v8, 1.0, v3
	v_cmp_nge_f32_e32 vcc, 1.0, v9
	v_fmac_f32_e32 v10, v7, v7
	v_cndmask_b32_e32 v3, v8, v3, vcc
	v_mul_f32_e32 v7, 0x4f800000, v10
	v_cmp_gt_f32_e32 vcc, s9, v10
	v_cndmask_b32_e32 v7, v10, v7, vcc
	v_sqrt_f32_e32 v9, v7
	s_add_i32 s3, s3, -2
	v_add_f32_e32 v8, 1.0, v3
	s_cmp_lg_u32 s3, 0
	v_add_u32_e32 v10, -1, v9
	v_add_u32_e32 v11, 1, v9
	v_fma_f32 v12, -v10, v9, v7
	v_fma_f32 v13, -v11, v9, v7
	v_cmp_ge_f32_e64 s[0:1], 0, v12
	v_cndmask_b32_e64 v9, v9, v10, s[0:1]
	v_cmp_lt_f32_e64 s[0:1], 0, v13
	v_cndmask_b32_e64 v9, v9, v11, s[0:1]
	v_mul_f32_e32 v10, 0x37800000, v9
	v_cndmask_b32_e32 v9, v9, v10, vcc
	v_cmp_class_f32_e32 vcc, v7, v4
	v_cndmask_b32_e32 v7, v9, v7, vcc
	v_cmp_nge_f32_e32 vcc, 1.0, v7
	v_cndmask_b32_e32 v3, v8, v3, vcc
	s_cbranch_scc1 .LBB29_257
; %bb.258:
	v_add_u32_e32 v4, 0x7eed5e96, v5
	v_lshrrev_b32_e32 v6, 19, v4
	v_xor_b32_e32 v4, v4, v6
	v_xor_b32_e32 v4, 0xc761c23c, v4
	v_lshl_add_u32 v4, v4, 5, v4
	v_mov_b32_e32 v7, 0xaccf6200
	v_add_u32_e32 v6, 0xe9f8cc1d, v4
	v_lshl_add_u32 v4, v4, 9, v7
	v_xor_b32_e32 v4, v6, v4
	v_lshlrev_b32_e32 v6, 3, v4
	s_mov_b32 s0, 0xfd7046c5
	v_add3_u32 v4, v4, v6, s0
	v_xor_b32_sdwa v4, v4, v4 dst_sel:DWORD dst_unused:UNUSED_PAD src0_sel:DWORD src1_sel:WORD_1
	v_xor_b32_e32 v4, 0xb55a4f09, v4
	v_mul_hi_u32 v6, v4, 3
	v_sub_u32_e32 v7, v4, v6
	v_lshrrev_b32_e32 v7, 1, v7
	v_add_u32_e32 v6, v7, v6
	v_lshrrev_b32_e32 v6, 30, v6
	s_brev_b32 s0, -2
	v_mul_lo_u32 v6, v6, s0
	v_sub_u32_e32 v4, v4, v6
	v_max_u32_e32 v7, 1, v4
	s_movk_i32 s3, 0x2710
	v_mov_b32_e32 v4, 0
	s_mov_b32 s4, 0xbc8f1391
	s_mov_b32 s5, 0xbc8f
	s_brev_b32 s8, 12
	s_mov_b32 s9, 0xf800000
	v_mov_b32_e32 v6, 0x260
.LBB29_259:                             ; =>This Inner Loop Header: Depth=1
	v_mul_hi_u32 v8, v7, s4
	v_lshrrev_b32_e32 v8, 15, v8
	v_mul_u32_u24_e32 v10, 0xadc8, v8
	v_sub_u32_e32 v7, v7, v10
	v_mul_u32_u24_e32 v8, 0xd47, v8
	v_mul_lo_u32 v7, v7, s5
	v_xor_b32_e32 v10, 0x7fffffff, v8
	v_sub_u32_e32 v11, 0, v8
	v_cmp_lt_u32_e32 vcc, v7, v8
	v_cndmask_b32_e32 v8, v11, v10, vcc
	v_add_u32_e32 v7, v8, v7
	v_mul_hi_u32 v10, v7, s4
	v_lshrrev_b32_e32 v10, 15, v10
	v_mul_u32_u24_e32 v11, 0xadc8, v10
	v_add_u32_e32 v8, -1, v7
	v_sub_u32_e32 v7, v7, v11
	v_mul_u32_u24_e32 v10, 0xd47, v10
	v_mul_lo_u32 v7, v7, s5
	v_xor_b32_e32 v11, 0x7fffffff, v10
	v_sub_u32_e32 v12, 0, v10
	v_cmp_lt_u32_e32 vcc, v7, v10
	v_cndmask_b32_e32 v10, v12, v11, vcc
	v_add_u32_e32 v7, v10, v7
	v_mul_hi_u32 v11, v7, s4
	v_add_u32_e32 v10, -1, v7
	v_lshrrev_b32_e32 v11, 15, v11
	v_cvt_f32_u32_e32 v10, v10
	v_mul_u32_u24_e32 v12, 0xadc8, v11
	v_cvt_f32_u32_e32 v8, v8
	v_sub_u32_e32 v7, v7, v12
	v_mul_u32_u24_e32 v11, 0xd47, v11
	v_mul_lo_u32 v7, v7, s5
	v_xor_b32_e32 v12, 0x7fffffff, v11
	v_sub_u32_e32 v13, 0, v11
	v_cmp_lt_u32_e32 vcc, v7, v11
	v_fma_f32 v10, v10, s8, 0
	v_cndmask_b32_e32 v11, v13, v12, vcc
	v_fma_f32 v8, v8, s8, 0
	v_mul_f32_e32 v10, v10, v10
	v_add_u32_e32 v7, v11, v7
	v_fmac_f32_e32 v10, v8, v8
	v_mul_hi_u32 v11, v7, s4
	v_mul_f32_e32 v12, 0x4f800000, v10
	v_lshrrev_b32_e32 v11, 15, v11
	v_cmp_gt_f32_e32 vcc, s9, v10
	v_cndmask_b32_e32 v10, v10, v12, vcc
	v_mul_u32_u24_e32 v12, 0xadc8, v11
	v_add_u32_e32 v8, -1, v7
	v_sqrt_f32_e32 v13, v10
	v_sub_u32_e32 v7, v7, v12
	v_mul_u32_u24_e32 v11, 0xd47, v11
	v_mul_lo_u32 v7, v7, s5
	v_xor_b32_e32 v12, 0x7fffffff, v11
	v_sub_u32_e32 v14, 0, v11
	v_cmp_lt_u32_e64 s[0:1], v7, v11
	v_cndmask_b32_e64 v11, v14, v12, s[0:1]
	v_add_u32_e32 v7, v11, v7
	v_add_u32_e32 v11, -1, v13
	v_add_u32_e32 v12, 1, v13
	v_add_u32_e32 v14, -1, v7
	v_fma_f32 v15, -v11, v13, v10
	v_fma_f32 v16, -v12, v13, v10
	v_cvt_f32_u32_e32 v14, v14
	v_cmp_ge_f32_e64 s[0:1], 0, v15
	v_cvt_f32_u32_e32 v8, v8
	v_cndmask_b32_e64 v11, v13, v11, s[0:1]
	v_cmp_lt_f32_e64 s[0:1], 0, v16
	v_cndmask_b32_e64 v11, v11, v12, s[0:1]
	v_mul_f32_e32 v12, 0x37800000, v11
	v_cndmask_b32_e32 v11, v11, v12, vcc
	v_fma_f32 v12, v14, s8, 0
	v_cmp_class_f32_e32 vcc, v10, v6
	v_fma_f32 v8, v8, s8, 0
	v_cndmask_b32_e32 v10, v11, v10, vcc
	v_mul_f32_e32 v11, v12, v12
	v_add_f32_e32 v9, 1.0, v4
	v_cmp_nge_f32_e32 vcc, 1.0, v10
	v_fmac_f32_e32 v11, v8, v8
	v_cndmask_b32_e32 v4, v9, v4, vcc
	v_mul_f32_e32 v8, 0x4f800000, v11
	v_cmp_gt_f32_e32 vcc, s9, v11
	v_cndmask_b32_e32 v8, v11, v8, vcc
	v_sqrt_f32_e32 v10, v8
	s_add_i32 s3, s3, -2
	v_add_f32_e32 v9, 1.0, v4
	s_cmp_lg_u32 s3, 0
	v_add_u32_e32 v11, -1, v10
	v_add_u32_e32 v12, 1, v10
	v_fma_f32 v13, -v11, v10, v8
	v_fma_f32 v14, -v12, v10, v8
	v_cmp_ge_f32_e64 s[0:1], 0, v13
	v_cndmask_b32_e64 v10, v10, v11, s[0:1]
	v_cmp_lt_f32_e64 s[0:1], 0, v14
	v_cndmask_b32_e64 v10, v10, v12, s[0:1]
	v_mul_f32_e32 v11, 0x37800000, v10
	v_cndmask_b32_e32 v10, v10, v11, vcc
	v_cmp_class_f32_e32 vcc, v8, v6
	v_cndmask_b32_e32 v8, v10, v8, vcc
	v_cmp_nge_f32_e32 vcc, 1.0, v8
	v_cndmask_b32_e32 v4, v9, v4, vcc
	s_cbranch_scc1 .LBB29_259
; %bb.260:
	v_add_u32_e32 v6, 0x7ef55f16, v5
	v_lshrrev_b32_e32 v7, 19, v6
	v_xor_b32_e32 v6, v6, v7
	v_xor_b32_e32 v6, 0xc761c23c, v6
	v_lshl_add_u32 v6, v6, 5, v6
	v_mov_b32_e32 v8, 0xaccf6200
	v_add_u32_e32 v7, 0xe9f8cc1d, v6
	v_lshl_add_u32 v6, v6, 9, v8
	v_xor_b32_e32 v6, v7, v6
	v_lshlrev_b32_e32 v7, 3, v6
	s_mov_b32 s0, 0xfd7046c5
	v_add3_u32 v6, v6, v7, s0
	v_xor_b32_sdwa v6, v6, v6 dst_sel:DWORD dst_unused:UNUSED_PAD src0_sel:DWORD src1_sel:WORD_1
	v_xor_b32_e32 v6, 0xb55a4f09, v6
	v_mul_hi_u32 v7, v6, 3
	v_sub_u32_e32 v8, v6, v7
	v_lshrrev_b32_e32 v8, 1, v8
	v_add_u32_e32 v7, v8, v7
	v_lshrrev_b32_e32 v7, 30, v7
	s_brev_b32 s0, -2
	v_mul_lo_u32 v7, v7, s0
	v_sub_u32_e32 v6, v6, v7
	v_max_u32_e32 v8, 1, v6
	s_movk_i32 s3, 0x2710
	v_mov_b32_e32 v6, 0
	s_mov_b32 s4, 0xbc8f1391
	s_mov_b32 s5, 0xbc8f
	s_brev_b32 s8, 12
	s_mov_b32 s9, 0xf800000
	v_mov_b32_e32 v7, 0x260
.LBB29_261:                             ; =>This Inner Loop Header: Depth=1
	v_mul_hi_u32 v9, v8, s4
	v_lshrrev_b32_e32 v9, 15, v9
	v_mul_u32_u24_e32 v11, 0xadc8, v9
	v_sub_u32_e32 v8, v8, v11
	v_mul_u32_u24_e32 v9, 0xd47, v9
	v_mul_lo_u32 v8, v8, s5
	v_xor_b32_e32 v11, 0x7fffffff, v9
	v_sub_u32_e32 v12, 0, v9
	v_cmp_lt_u32_e32 vcc, v8, v9
	v_cndmask_b32_e32 v9, v12, v11, vcc
	v_add_u32_e32 v8, v9, v8
	v_mul_hi_u32 v11, v8, s4
	v_lshrrev_b32_e32 v11, 15, v11
	v_mul_u32_u24_e32 v12, 0xadc8, v11
	v_add_u32_e32 v9, -1, v8
	v_sub_u32_e32 v8, v8, v12
	v_mul_u32_u24_e32 v11, 0xd47, v11
	v_mul_lo_u32 v8, v8, s5
	v_xor_b32_e32 v12, 0x7fffffff, v11
	v_sub_u32_e32 v13, 0, v11
	v_cmp_lt_u32_e32 vcc, v8, v11
	v_cndmask_b32_e32 v11, v13, v12, vcc
	v_add_u32_e32 v8, v11, v8
	v_mul_hi_u32 v12, v8, s4
	v_add_u32_e32 v11, -1, v8
	v_lshrrev_b32_e32 v12, 15, v12
	v_cvt_f32_u32_e32 v11, v11
	v_mul_u32_u24_e32 v13, 0xadc8, v12
	v_cvt_f32_u32_e32 v9, v9
	v_sub_u32_e32 v8, v8, v13
	v_mul_u32_u24_e32 v12, 0xd47, v12
	v_mul_lo_u32 v8, v8, s5
	v_xor_b32_e32 v13, 0x7fffffff, v12
	v_sub_u32_e32 v14, 0, v12
	v_cmp_lt_u32_e32 vcc, v8, v12
	v_fma_f32 v11, v11, s8, 0
	v_cndmask_b32_e32 v12, v14, v13, vcc
	v_fma_f32 v9, v9, s8, 0
	v_mul_f32_e32 v11, v11, v11
	v_add_u32_e32 v8, v12, v8
	v_fmac_f32_e32 v11, v9, v9
	v_mul_hi_u32 v12, v8, s4
	v_mul_f32_e32 v13, 0x4f800000, v11
	v_lshrrev_b32_e32 v12, 15, v12
	v_cmp_gt_f32_e32 vcc, s9, v11
	v_cndmask_b32_e32 v11, v11, v13, vcc
	v_mul_u32_u24_e32 v13, 0xadc8, v12
	v_add_u32_e32 v9, -1, v8
	v_sqrt_f32_e32 v14, v11
	v_sub_u32_e32 v8, v8, v13
	v_mul_u32_u24_e32 v12, 0xd47, v12
	v_mul_lo_u32 v8, v8, s5
	v_xor_b32_e32 v13, 0x7fffffff, v12
	v_sub_u32_e32 v15, 0, v12
	v_cmp_lt_u32_e64 s[0:1], v8, v12
	v_cndmask_b32_e64 v12, v15, v13, s[0:1]
	v_add_u32_e32 v8, v12, v8
	v_add_u32_e32 v12, -1, v14
	v_add_u32_e32 v13, 1, v14
	v_add_u32_e32 v15, -1, v8
	v_fma_f32 v16, -v12, v14, v11
	v_fma_f32 v17, -v13, v14, v11
	v_cvt_f32_u32_e32 v15, v15
	v_cmp_ge_f32_e64 s[0:1], 0, v16
	v_cvt_f32_u32_e32 v9, v9
	v_cndmask_b32_e64 v12, v14, v12, s[0:1]
	v_cmp_lt_f32_e64 s[0:1], 0, v17
	v_cndmask_b32_e64 v12, v12, v13, s[0:1]
	v_mul_f32_e32 v13, 0x37800000, v12
	v_cndmask_b32_e32 v12, v12, v13, vcc
	v_fma_f32 v13, v15, s8, 0
	v_cmp_class_f32_e32 vcc, v11, v7
	v_fma_f32 v9, v9, s8, 0
	v_cndmask_b32_e32 v11, v12, v11, vcc
	v_mul_f32_e32 v12, v13, v13
	v_add_f32_e32 v10, 1.0, v6
	v_cmp_nge_f32_e32 vcc, 1.0, v11
	v_fmac_f32_e32 v12, v9, v9
	v_cndmask_b32_e32 v6, v10, v6, vcc
	v_mul_f32_e32 v9, 0x4f800000, v12
	v_cmp_gt_f32_e32 vcc, s9, v12
	v_cndmask_b32_e32 v9, v12, v9, vcc
	v_sqrt_f32_e32 v11, v9
	s_add_i32 s3, s3, -2
	v_add_f32_e32 v10, 1.0, v6
	s_cmp_lg_u32 s3, 0
	v_add_u32_e32 v12, -1, v11
	v_add_u32_e32 v13, 1, v11
	v_fma_f32 v14, -v12, v11, v9
	v_fma_f32 v15, -v13, v11, v9
	v_cmp_ge_f32_e64 s[0:1], 0, v14
	v_cndmask_b32_e64 v11, v11, v12, s[0:1]
	v_cmp_lt_f32_e64 s[0:1], 0, v15
	v_cndmask_b32_e64 v11, v11, v13, s[0:1]
	v_mul_f32_e32 v12, 0x37800000, v11
	v_cndmask_b32_e32 v11, v11, v12, vcc
	v_cmp_class_f32_e32 vcc, v9, v7
	v_cndmask_b32_e32 v9, v11, v9, vcc
	v_cmp_nge_f32_e32 vcc, 1.0, v9
	v_cndmask_b32_e32 v6, v10, v6, vcc
	s_cbranch_scc1 .LBB29_261
; %bb.262:
	v_add_u32_e32 v7, 0x7efd5f96, v5
	v_lshrrev_b32_e32 v8, 19, v7
	v_xor_b32_e32 v7, v7, v8
	v_xor_b32_e32 v7, 0xc761c23c, v7
	v_lshl_add_u32 v7, v7, 5, v7
	v_mov_b32_e32 v9, 0xaccf6200
	v_add_u32_e32 v8, 0xe9f8cc1d, v7
	v_lshl_add_u32 v7, v7, 9, v9
	v_xor_b32_e32 v7, v8, v7
	v_lshlrev_b32_e32 v8, 3, v7
	s_mov_b32 s0, 0xfd7046c5
	v_add3_u32 v7, v7, v8, s0
	v_xor_b32_sdwa v7, v7, v7 dst_sel:DWORD dst_unused:UNUSED_PAD src0_sel:DWORD src1_sel:WORD_1
	v_xor_b32_e32 v7, 0xb55a4f09, v7
	v_mul_hi_u32 v8, v7, 3
	v_sub_u32_e32 v9, v7, v8
	v_lshrrev_b32_e32 v9, 1, v9
	v_add_u32_e32 v8, v9, v8
	v_lshrrev_b32_e32 v8, 30, v8
	s_brev_b32 s0, -2
	v_mul_lo_u32 v8, v8, s0
	v_sub_u32_e32 v7, v7, v8
	v_max_u32_e32 v9, 1, v7
	s_movk_i32 s3, 0x2710
	v_mov_b32_e32 v7, 0
	s_mov_b32 s4, 0xbc8f1391
	s_mov_b32 s5, 0xbc8f
	s_brev_b32 s8, 12
	s_mov_b32 s9, 0xf800000
	v_mov_b32_e32 v8, 0x260
.LBB29_263:                             ; =>This Inner Loop Header: Depth=1
	v_mul_hi_u32 v10, v9, s4
	v_lshrrev_b32_e32 v10, 15, v10
	v_mul_u32_u24_e32 v12, 0xadc8, v10
	v_sub_u32_e32 v9, v9, v12
	v_mul_u32_u24_e32 v10, 0xd47, v10
	v_mul_lo_u32 v9, v9, s5
	v_xor_b32_e32 v12, 0x7fffffff, v10
	v_sub_u32_e32 v13, 0, v10
	v_cmp_lt_u32_e32 vcc, v9, v10
	v_cndmask_b32_e32 v10, v13, v12, vcc
	v_add_u32_e32 v9, v10, v9
	v_mul_hi_u32 v12, v9, s4
	v_lshrrev_b32_e32 v12, 15, v12
	v_mul_u32_u24_e32 v13, 0xadc8, v12
	v_add_u32_e32 v10, -1, v9
	v_sub_u32_e32 v9, v9, v13
	v_mul_u32_u24_e32 v12, 0xd47, v12
	v_mul_lo_u32 v9, v9, s5
	v_xor_b32_e32 v13, 0x7fffffff, v12
	v_sub_u32_e32 v14, 0, v12
	v_cmp_lt_u32_e32 vcc, v9, v12
	v_cndmask_b32_e32 v12, v14, v13, vcc
	v_add_u32_e32 v9, v12, v9
	v_mul_hi_u32 v13, v9, s4
	v_add_u32_e32 v12, -1, v9
	v_lshrrev_b32_e32 v13, 15, v13
	v_cvt_f32_u32_e32 v12, v12
	v_mul_u32_u24_e32 v14, 0xadc8, v13
	v_cvt_f32_u32_e32 v10, v10
	v_sub_u32_e32 v9, v9, v14
	v_mul_u32_u24_e32 v13, 0xd47, v13
	v_mul_lo_u32 v9, v9, s5
	v_xor_b32_e32 v14, 0x7fffffff, v13
	v_sub_u32_e32 v15, 0, v13
	v_cmp_lt_u32_e32 vcc, v9, v13
	v_fma_f32 v12, v12, s8, 0
	v_cndmask_b32_e32 v13, v15, v14, vcc
	v_fma_f32 v10, v10, s8, 0
	v_mul_f32_e32 v12, v12, v12
	v_add_u32_e32 v9, v13, v9
	v_fmac_f32_e32 v12, v10, v10
	v_mul_hi_u32 v13, v9, s4
	v_mul_f32_e32 v14, 0x4f800000, v12
	v_lshrrev_b32_e32 v13, 15, v13
	v_cmp_gt_f32_e32 vcc, s9, v12
	v_cndmask_b32_e32 v12, v12, v14, vcc
	v_mul_u32_u24_e32 v14, 0xadc8, v13
	v_add_u32_e32 v10, -1, v9
	v_sqrt_f32_e32 v15, v12
	v_sub_u32_e32 v9, v9, v14
	v_mul_u32_u24_e32 v13, 0xd47, v13
	v_mul_lo_u32 v9, v9, s5
	v_xor_b32_e32 v14, 0x7fffffff, v13
	v_sub_u32_e32 v16, 0, v13
	v_cmp_lt_u32_e64 s[0:1], v9, v13
	v_cndmask_b32_e64 v13, v16, v14, s[0:1]
	v_add_u32_e32 v9, v13, v9
	v_add_u32_e32 v13, -1, v15
	v_add_u32_e32 v14, 1, v15
	v_add_u32_e32 v16, -1, v9
	v_fma_f32 v17, -v13, v15, v12
	v_fma_f32 v18, -v14, v15, v12
	v_cvt_f32_u32_e32 v16, v16
	v_cmp_ge_f32_e64 s[0:1], 0, v17
	v_cvt_f32_u32_e32 v10, v10
	v_cndmask_b32_e64 v13, v15, v13, s[0:1]
	v_cmp_lt_f32_e64 s[0:1], 0, v18
	v_cndmask_b32_e64 v13, v13, v14, s[0:1]
	v_mul_f32_e32 v14, 0x37800000, v13
	v_cndmask_b32_e32 v13, v13, v14, vcc
	v_fma_f32 v14, v16, s8, 0
	v_cmp_class_f32_e32 vcc, v12, v8
	v_fma_f32 v10, v10, s8, 0
	v_cndmask_b32_e32 v12, v13, v12, vcc
	v_mul_f32_e32 v13, v14, v14
	v_add_f32_e32 v11, 1.0, v7
	v_cmp_nge_f32_e32 vcc, 1.0, v12
	v_fmac_f32_e32 v13, v10, v10
	v_cndmask_b32_e32 v7, v11, v7, vcc
	v_mul_f32_e32 v10, 0x4f800000, v13
	v_cmp_gt_f32_e32 vcc, s9, v13
	v_cndmask_b32_e32 v10, v13, v10, vcc
	v_sqrt_f32_e32 v12, v10
	s_add_i32 s3, s3, -2
	v_add_f32_e32 v11, 1.0, v7
	s_cmp_lg_u32 s3, 0
	v_add_u32_e32 v13, -1, v12
	v_add_u32_e32 v14, 1, v12
	v_fma_f32 v15, -v13, v12, v10
	v_fma_f32 v16, -v14, v12, v10
	v_cmp_ge_f32_e64 s[0:1], 0, v15
	v_cndmask_b32_e64 v12, v12, v13, s[0:1]
	v_cmp_lt_f32_e64 s[0:1], 0, v16
	v_cndmask_b32_e64 v12, v12, v14, s[0:1]
	v_mul_f32_e32 v13, 0x37800000, v12
	v_cndmask_b32_e32 v12, v12, v13, vcc
	v_cmp_class_f32_e32 vcc, v10, v8
	v_cndmask_b32_e32 v10, v12, v10, vcc
	v_cmp_nge_f32_e32 vcc, 1.0, v10
	v_cndmask_b32_e32 v7, v11, v7, vcc
	s_cbranch_scc1 .LBB29_263
; %bb.264:
	v_add_u32_e32 v8, 0x7f056016, v5
	v_lshrrev_b32_e32 v9, 19, v8
	v_xor_b32_e32 v8, v8, v9
	v_xor_b32_e32 v8, 0xc761c23c, v8
	v_lshl_add_u32 v8, v8, 5, v8
	v_mov_b32_e32 v10, 0xaccf6200
	v_add_u32_e32 v9, 0xe9f8cc1d, v8
	v_lshl_add_u32 v8, v8, 9, v10
	v_xor_b32_e32 v8, v9, v8
	v_lshlrev_b32_e32 v9, 3, v8
	s_mov_b32 s0, 0xfd7046c5
	v_add3_u32 v8, v8, v9, s0
	v_xor_b32_sdwa v8, v8, v8 dst_sel:DWORD dst_unused:UNUSED_PAD src0_sel:DWORD src1_sel:WORD_1
	v_xor_b32_e32 v8, 0xb55a4f09, v8
	v_mul_hi_u32 v9, v8, 3
	v_sub_u32_e32 v10, v8, v9
	v_lshrrev_b32_e32 v10, 1, v10
	v_add_u32_e32 v9, v10, v9
	v_lshrrev_b32_e32 v9, 30, v9
	s_brev_b32 s0, -2
	v_mul_lo_u32 v9, v9, s0
	v_sub_u32_e32 v8, v8, v9
	v_max_u32_e32 v10, 1, v8
	s_movk_i32 s3, 0x2710
	v_mov_b32_e32 v8, 0
	s_mov_b32 s4, 0xbc8f1391
	s_mov_b32 s5, 0xbc8f
	s_brev_b32 s8, 12
	s_mov_b32 s9, 0xf800000
	v_mov_b32_e32 v9, 0x260
.LBB29_265:                             ; =>This Inner Loop Header: Depth=1
	v_mul_hi_u32 v11, v10, s4
	v_lshrrev_b32_e32 v11, 15, v11
	v_mul_u32_u24_e32 v13, 0xadc8, v11
	v_sub_u32_e32 v10, v10, v13
	v_mul_u32_u24_e32 v11, 0xd47, v11
	v_mul_lo_u32 v10, v10, s5
	v_xor_b32_e32 v13, 0x7fffffff, v11
	v_sub_u32_e32 v14, 0, v11
	v_cmp_lt_u32_e32 vcc, v10, v11
	v_cndmask_b32_e32 v11, v14, v13, vcc
	v_add_u32_e32 v10, v11, v10
	v_mul_hi_u32 v13, v10, s4
	v_lshrrev_b32_e32 v13, 15, v13
	v_mul_u32_u24_e32 v14, 0xadc8, v13
	v_add_u32_e32 v11, -1, v10
	v_sub_u32_e32 v10, v10, v14
	v_mul_u32_u24_e32 v13, 0xd47, v13
	v_mul_lo_u32 v10, v10, s5
	v_xor_b32_e32 v14, 0x7fffffff, v13
	v_sub_u32_e32 v15, 0, v13
	v_cmp_lt_u32_e32 vcc, v10, v13
	v_cndmask_b32_e32 v13, v15, v14, vcc
	v_add_u32_e32 v10, v13, v10
	v_mul_hi_u32 v14, v10, s4
	v_add_u32_e32 v13, -1, v10
	v_lshrrev_b32_e32 v14, 15, v14
	v_cvt_f32_u32_e32 v13, v13
	v_mul_u32_u24_e32 v15, 0xadc8, v14
	v_cvt_f32_u32_e32 v11, v11
	v_sub_u32_e32 v10, v10, v15
	v_mul_u32_u24_e32 v14, 0xd47, v14
	v_mul_lo_u32 v10, v10, s5
	v_xor_b32_e32 v15, 0x7fffffff, v14
	v_sub_u32_e32 v16, 0, v14
	v_cmp_lt_u32_e32 vcc, v10, v14
	v_fma_f32 v13, v13, s8, 0
	v_cndmask_b32_e32 v14, v16, v15, vcc
	v_fma_f32 v11, v11, s8, 0
	v_mul_f32_e32 v13, v13, v13
	v_add_u32_e32 v10, v14, v10
	v_fmac_f32_e32 v13, v11, v11
	v_mul_hi_u32 v14, v10, s4
	v_mul_f32_e32 v15, 0x4f800000, v13
	v_lshrrev_b32_e32 v14, 15, v14
	v_cmp_gt_f32_e32 vcc, s9, v13
	v_cndmask_b32_e32 v13, v13, v15, vcc
	v_mul_u32_u24_e32 v15, 0xadc8, v14
	v_add_u32_e32 v11, -1, v10
	v_sqrt_f32_e32 v16, v13
	v_sub_u32_e32 v10, v10, v15
	v_mul_u32_u24_e32 v14, 0xd47, v14
	v_mul_lo_u32 v10, v10, s5
	v_xor_b32_e32 v15, 0x7fffffff, v14
	v_sub_u32_e32 v17, 0, v14
	v_cmp_lt_u32_e64 s[0:1], v10, v14
	v_cndmask_b32_e64 v14, v17, v15, s[0:1]
	v_add_u32_e32 v10, v14, v10
	v_add_u32_e32 v14, -1, v16
	v_add_u32_e32 v15, 1, v16
	v_add_u32_e32 v17, -1, v10
	v_fma_f32 v18, -v14, v16, v13
	v_fma_f32 v19, -v15, v16, v13
	v_cvt_f32_u32_e32 v17, v17
	v_cmp_ge_f32_e64 s[0:1], 0, v18
	v_cvt_f32_u32_e32 v11, v11
	v_cndmask_b32_e64 v14, v16, v14, s[0:1]
	v_cmp_lt_f32_e64 s[0:1], 0, v19
	v_cndmask_b32_e64 v14, v14, v15, s[0:1]
	v_mul_f32_e32 v15, 0x37800000, v14
	v_cndmask_b32_e32 v14, v14, v15, vcc
	v_fma_f32 v15, v17, s8, 0
	v_cmp_class_f32_e32 vcc, v13, v9
	v_fma_f32 v11, v11, s8, 0
	v_cndmask_b32_e32 v13, v14, v13, vcc
	v_mul_f32_e32 v14, v15, v15
	v_add_f32_e32 v12, 1.0, v8
	v_cmp_nge_f32_e32 vcc, 1.0, v13
	v_fmac_f32_e32 v14, v11, v11
	v_cndmask_b32_e32 v8, v12, v8, vcc
	v_mul_f32_e32 v11, 0x4f800000, v14
	v_cmp_gt_f32_e32 vcc, s9, v14
	v_cndmask_b32_e32 v11, v14, v11, vcc
	v_sqrt_f32_e32 v13, v11
	s_add_i32 s3, s3, -2
	v_add_f32_e32 v12, 1.0, v8
	s_cmp_lg_u32 s3, 0
	v_add_u32_e32 v14, -1, v13
	v_add_u32_e32 v15, 1, v13
	v_fma_f32 v16, -v14, v13, v11
	v_fma_f32 v17, -v15, v13, v11
	v_cmp_ge_f32_e64 s[0:1], 0, v16
	v_cndmask_b32_e64 v13, v13, v14, s[0:1]
	v_cmp_lt_f32_e64 s[0:1], 0, v17
	v_cndmask_b32_e64 v13, v13, v15, s[0:1]
	v_mul_f32_e32 v14, 0x37800000, v13
	v_cndmask_b32_e32 v13, v13, v14, vcc
	v_cmp_class_f32_e32 vcc, v11, v9
	v_cndmask_b32_e32 v11, v13, v11, vcc
	v_cmp_nge_f32_e32 vcc, 1.0, v11
	v_cndmask_b32_e32 v8, v12, v8, vcc
	s_cbranch_scc1 .LBB29_265
; %bb.266:
	v_add_u32_e32 v9, 0x7f0d6096, v5
	v_lshrrev_b32_e32 v10, 19, v9
	v_xor_b32_e32 v9, v9, v10
	v_xor_b32_e32 v9, 0xc761c23c, v9
	v_lshl_add_u32 v9, v9, 5, v9
	v_mov_b32_e32 v11, 0xaccf6200
	v_add_u32_e32 v10, 0xe9f8cc1d, v9
	v_lshl_add_u32 v9, v9, 9, v11
	v_xor_b32_e32 v9, v10, v9
	v_lshlrev_b32_e32 v10, 3, v9
	s_mov_b32 s0, 0xfd7046c5
	v_add3_u32 v9, v9, v10, s0
	v_xor_b32_sdwa v9, v9, v9 dst_sel:DWORD dst_unused:UNUSED_PAD src0_sel:DWORD src1_sel:WORD_1
	v_xor_b32_e32 v9, 0xb55a4f09, v9
	v_mul_hi_u32 v10, v9, 3
	v_sub_u32_e32 v11, v9, v10
	v_lshrrev_b32_e32 v11, 1, v11
	v_add_u32_e32 v10, v11, v10
	v_lshrrev_b32_e32 v10, 30, v10
	s_brev_b32 s0, -2
	v_mul_lo_u32 v10, v10, s0
	v_sub_u32_e32 v9, v9, v10
	v_max_u32_e32 v11, 1, v9
	s_movk_i32 s3, 0x2710
	v_mov_b32_e32 v9, 0
	s_mov_b32 s4, 0xbc8f1391
	s_mov_b32 s5, 0xbc8f
	s_brev_b32 s8, 12
	s_mov_b32 s9, 0xf800000
	v_mov_b32_e32 v10, 0x260
.LBB29_267:                             ; =>This Inner Loop Header: Depth=1
	v_mul_hi_u32 v12, v11, s4
	v_lshrrev_b32_e32 v12, 15, v12
	v_mul_u32_u24_e32 v14, 0xadc8, v12
	v_sub_u32_e32 v11, v11, v14
	v_mul_u32_u24_e32 v12, 0xd47, v12
	v_mul_lo_u32 v11, v11, s5
	v_xor_b32_e32 v14, 0x7fffffff, v12
	v_sub_u32_e32 v15, 0, v12
	v_cmp_lt_u32_e32 vcc, v11, v12
	v_cndmask_b32_e32 v12, v15, v14, vcc
	v_add_u32_e32 v11, v12, v11
	v_mul_hi_u32 v14, v11, s4
	v_lshrrev_b32_e32 v14, 15, v14
	v_mul_u32_u24_e32 v15, 0xadc8, v14
	v_add_u32_e32 v12, -1, v11
	v_sub_u32_e32 v11, v11, v15
	v_mul_u32_u24_e32 v14, 0xd47, v14
	v_mul_lo_u32 v11, v11, s5
	v_xor_b32_e32 v15, 0x7fffffff, v14
	v_sub_u32_e32 v16, 0, v14
	v_cmp_lt_u32_e32 vcc, v11, v14
	v_cndmask_b32_e32 v14, v16, v15, vcc
	v_add_u32_e32 v11, v14, v11
	v_mul_hi_u32 v15, v11, s4
	v_add_u32_e32 v14, -1, v11
	v_lshrrev_b32_e32 v15, 15, v15
	v_cvt_f32_u32_e32 v14, v14
	v_mul_u32_u24_e32 v16, 0xadc8, v15
	v_cvt_f32_u32_e32 v12, v12
	v_sub_u32_e32 v11, v11, v16
	v_mul_u32_u24_e32 v15, 0xd47, v15
	v_mul_lo_u32 v11, v11, s5
	v_xor_b32_e32 v16, 0x7fffffff, v15
	v_sub_u32_e32 v17, 0, v15
	v_cmp_lt_u32_e32 vcc, v11, v15
	v_fma_f32 v14, v14, s8, 0
	v_cndmask_b32_e32 v15, v17, v16, vcc
	v_fma_f32 v12, v12, s8, 0
	v_mul_f32_e32 v14, v14, v14
	v_add_u32_e32 v11, v15, v11
	v_fmac_f32_e32 v14, v12, v12
	v_mul_hi_u32 v15, v11, s4
	v_mul_f32_e32 v16, 0x4f800000, v14
	v_lshrrev_b32_e32 v15, 15, v15
	v_cmp_gt_f32_e32 vcc, s9, v14
	v_cndmask_b32_e32 v14, v14, v16, vcc
	v_mul_u32_u24_e32 v16, 0xadc8, v15
	v_add_u32_e32 v12, -1, v11
	v_sqrt_f32_e32 v17, v14
	v_sub_u32_e32 v11, v11, v16
	v_mul_u32_u24_e32 v15, 0xd47, v15
	v_mul_lo_u32 v11, v11, s5
	v_xor_b32_e32 v16, 0x7fffffff, v15
	v_sub_u32_e32 v18, 0, v15
	v_cmp_lt_u32_e64 s[0:1], v11, v15
	v_cndmask_b32_e64 v15, v18, v16, s[0:1]
	v_add_u32_e32 v11, v15, v11
	v_add_u32_e32 v15, -1, v17
	v_add_u32_e32 v16, 1, v17
	v_add_u32_e32 v18, -1, v11
	v_fma_f32 v19, -v15, v17, v14
	v_fma_f32 v20, -v16, v17, v14
	v_cvt_f32_u32_e32 v18, v18
	v_cmp_ge_f32_e64 s[0:1], 0, v19
	v_cvt_f32_u32_e32 v12, v12
	v_cndmask_b32_e64 v15, v17, v15, s[0:1]
	v_cmp_lt_f32_e64 s[0:1], 0, v20
	v_cndmask_b32_e64 v15, v15, v16, s[0:1]
	v_mul_f32_e32 v16, 0x37800000, v15
	v_cndmask_b32_e32 v15, v15, v16, vcc
	v_fma_f32 v16, v18, s8, 0
	v_cmp_class_f32_e32 vcc, v14, v10
	v_fma_f32 v12, v12, s8, 0
	v_cndmask_b32_e32 v14, v15, v14, vcc
	v_mul_f32_e32 v15, v16, v16
	v_add_f32_e32 v13, 1.0, v9
	v_cmp_nge_f32_e32 vcc, 1.0, v14
	v_fmac_f32_e32 v15, v12, v12
	v_cndmask_b32_e32 v9, v13, v9, vcc
	v_mul_f32_e32 v12, 0x4f800000, v15
	v_cmp_gt_f32_e32 vcc, s9, v15
	v_cndmask_b32_e32 v12, v15, v12, vcc
	v_sqrt_f32_e32 v14, v12
	s_add_i32 s3, s3, -2
	v_add_f32_e32 v13, 1.0, v9
	s_cmp_lg_u32 s3, 0
	v_add_u32_e32 v15, -1, v14
	v_add_u32_e32 v16, 1, v14
	v_fma_f32 v17, -v15, v14, v12
	v_fma_f32 v18, -v16, v14, v12
	v_cmp_ge_f32_e64 s[0:1], 0, v17
	v_cndmask_b32_e64 v14, v14, v15, s[0:1]
	v_cmp_lt_f32_e64 s[0:1], 0, v18
	v_cndmask_b32_e64 v14, v14, v16, s[0:1]
	v_mul_f32_e32 v15, 0x37800000, v14
	v_cndmask_b32_e32 v14, v14, v15, vcc
	v_cmp_class_f32_e32 vcc, v12, v10
	v_cndmask_b32_e32 v12, v14, v12, vcc
	v_cmp_nge_f32_e32 vcc, 1.0, v12
	v_cndmask_b32_e32 v9, v13, v9, vcc
	s_cbranch_scc1 .LBB29_267
; %bb.268:
	v_add_u32_e32 v10, 0x7f156116, v5
	v_lshrrev_b32_e32 v11, 19, v10
	v_xor_b32_e32 v10, v10, v11
	v_xor_b32_e32 v10, 0xc761c23c, v10
	v_lshl_add_u32 v10, v10, 5, v10
	v_mov_b32_e32 v12, 0xaccf6200
	v_add_u32_e32 v11, 0xe9f8cc1d, v10
	v_lshl_add_u32 v10, v10, 9, v12
	v_xor_b32_e32 v10, v11, v10
	v_lshlrev_b32_e32 v11, 3, v10
	s_mov_b32 s0, 0xfd7046c5
	v_add3_u32 v10, v10, v11, s0
	v_xor_b32_sdwa v10, v10, v10 dst_sel:DWORD dst_unused:UNUSED_PAD src0_sel:DWORD src1_sel:WORD_1
	v_xor_b32_e32 v10, 0xb55a4f09, v10
	v_mul_hi_u32 v11, v10, 3
	v_sub_u32_e32 v12, v10, v11
	v_lshrrev_b32_e32 v12, 1, v12
	v_add_u32_e32 v11, v12, v11
	v_lshrrev_b32_e32 v11, 30, v11
	s_brev_b32 s0, -2
	v_mul_lo_u32 v11, v11, s0
	v_sub_u32_e32 v10, v10, v11
	v_max_u32_e32 v12, 1, v10
	s_movk_i32 s3, 0x2710
	v_mov_b32_e32 v10, 0
	s_mov_b32 s4, 0xbc8f1391
	s_mov_b32 s5, 0xbc8f
	s_brev_b32 s8, 12
	s_mov_b32 s9, 0xf800000
	v_mov_b32_e32 v11, 0x260
.LBB29_269:                             ; =>This Inner Loop Header: Depth=1
	v_mul_hi_u32 v13, v12, s4
	v_lshrrev_b32_e32 v13, 15, v13
	v_mul_u32_u24_e32 v15, 0xadc8, v13
	v_sub_u32_e32 v12, v12, v15
	v_mul_u32_u24_e32 v13, 0xd47, v13
	v_mul_lo_u32 v12, v12, s5
	v_xor_b32_e32 v15, 0x7fffffff, v13
	v_sub_u32_e32 v16, 0, v13
	v_cmp_lt_u32_e32 vcc, v12, v13
	v_cndmask_b32_e32 v13, v16, v15, vcc
	v_add_u32_e32 v12, v13, v12
	v_mul_hi_u32 v15, v12, s4
	v_lshrrev_b32_e32 v15, 15, v15
	v_mul_u32_u24_e32 v16, 0xadc8, v15
	v_add_u32_e32 v13, -1, v12
	v_sub_u32_e32 v12, v12, v16
	v_mul_u32_u24_e32 v15, 0xd47, v15
	v_mul_lo_u32 v12, v12, s5
	v_xor_b32_e32 v16, 0x7fffffff, v15
	v_sub_u32_e32 v17, 0, v15
	v_cmp_lt_u32_e32 vcc, v12, v15
	v_cndmask_b32_e32 v15, v17, v16, vcc
	v_add_u32_e32 v12, v15, v12
	v_mul_hi_u32 v16, v12, s4
	v_add_u32_e32 v15, -1, v12
	v_lshrrev_b32_e32 v16, 15, v16
	v_cvt_f32_u32_e32 v15, v15
	v_mul_u32_u24_e32 v17, 0xadc8, v16
	v_cvt_f32_u32_e32 v13, v13
	v_sub_u32_e32 v12, v12, v17
	v_mul_u32_u24_e32 v16, 0xd47, v16
	v_mul_lo_u32 v12, v12, s5
	v_xor_b32_e32 v17, 0x7fffffff, v16
	v_sub_u32_e32 v18, 0, v16
	v_cmp_lt_u32_e32 vcc, v12, v16
	v_fma_f32 v15, v15, s8, 0
	v_cndmask_b32_e32 v16, v18, v17, vcc
	v_fma_f32 v13, v13, s8, 0
	v_mul_f32_e32 v15, v15, v15
	v_add_u32_e32 v12, v16, v12
	v_fmac_f32_e32 v15, v13, v13
	v_mul_hi_u32 v16, v12, s4
	v_mul_f32_e32 v17, 0x4f800000, v15
	v_lshrrev_b32_e32 v16, 15, v16
	v_cmp_gt_f32_e32 vcc, s9, v15
	v_cndmask_b32_e32 v15, v15, v17, vcc
	v_mul_u32_u24_e32 v17, 0xadc8, v16
	v_add_u32_e32 v13, -1, v12
	v_sqrt_f32_e32 v18, v15
	v_sub_u32_e32 v12, v12, v17
	v_mul_u32_u24_e32 v16, 0xd47, v16
	v_mul_lo_u32 v12, v12, s5
	v_xor_b32_e32 v17, 0x7fffffff, v16
	v_sub_u32_e32 v19, 0, v16
	v_cmp_lt_u32_e64 s[0:1], v12, v16
	v_cndmask_b32_e64 v16, v19, v17, s[0:1]
	v_add_u32_e32 v12, v16, v12
	v_add_u32_e32 v16, -1, v18
	v_add_u32_e32 v17, 1, v18
	v_add_u32_e32 v19, -1, v12
	v_fma_f32 v20, -v16, v18, v15
	v_fma_f32 v21, -v17, v18, v15
	v_cvt_f32_u32_e32 v19, v19
	v_cmp_ge_f32_e64 s[0:1], 0, v20
	v_cvt_f32_u32_e32 v13, v13
	v_cndmask_b32_e64 v16, v18, v16, s[0:1]
	v_cmp_lt_f32_e64 s[0:1], 0, v21
	v_cndmask_b32_e64 v16, v16, v17, s[0:1]
	v_mul_f32_e32 v17, 0x37800000, v16
	v_cndmask_b32_e32 v16, v16, v17, vcc
	v_fma_f32 v17, v19, s8, 0
	v_cmp_class_f32_e32 vcc, v15, v11
	v_fma_f32 v13, v13, s8, 0
	v_cndmask_b32_e32 v15, v16, v15, vcc
	v_mul_f32_e32 v16, v17, v17
	v_add_f32_e32 v14, 1.0, v10
	v_cmp_nge_f32_e32 vcc, 1.0, v15
	v_fmac_f32_e32 v16, v13, v13
	v_cndmask_b32_e32 v10, v14, v10, vcc
	v_mul_f32_e32 v13, 0x4f800000, v16
	v_cmp_gt_f32_e32 vcc, s9, v16
	v_cndmask_b32_e32 v13, v16, v13, vcc
	v_sqrt_f32_e32 v15, v13
	s_add_i32 s3, s3, -2
	v_add_f32_e32 v14, 1.0, v10
	s_cmp_lg_u32 s3, 0
	v_add_u32_e32 v16, -1, v15
	v_add_u32_e32 v17, 1, v15
	v_fma_f32 v18, -v16, v15, v13
	v_fma_f32 v19, -v17, v15, v13
	v_cmp_ge_f32_e64 s[0:1], 0, v18
	v_cndmask_b32_e64 v15, v15, v16, s[0:1]
	v_cmp_lt_f32_e64 s[0:1], 0, v19
	v_cndmask_b32_e64 v15, v15, v17, s[0:1]
	v_mul_f32_e32 v16, 0x37800000, v15
	v_cndmask_b32_e32 v15, v15, v16, vcc
	v_cmp_class_f32_e32 vcc, v13, v11
	v_cndmask_b32_e32 v13, v15, v13, vcc
	v_cmp_nge_f32_e32 vcc, 1.0, v13
	v_cndmask_b32_e32 v10, v14, v10, vcc
	s_cbranch_scc1 .LBB29_269
; %bb.270:
	v_add_u32_e32 v11, 0x7f1d6196, v5
	v_lshrrev_b32_e32 v12, 19, v11
	v_xor_b32_e32 v11, v11, v12
	v_xor_b32_e32 v11, 0xc761c23c, v11
	v_lshl_add_u32 v11, v11, 5, v11
	v_mov_b32_e32 v13, 0xaccf6200
	v_add_u32_e32 v12, 0xe9f8cc1d, v11
	v_lshl_add_u32 v11, v11, 9, v13
	v_xor_b32_e32 v11, v12, v11
	v_lshlrev_b32_e32 v12, 3, v11
	s_mov_b32 s0, 0xfd7046c5
	v_add3_u32 v11, v11, v12, s0
	v_xor_b32_sdwa v11, v11, v11 dst_sel:DWORD dst_unused:UNUSED_PAD src0_sel:DWORD src1_sel:WORD_1
	v_xor_b32_e32 v11, 0xb55a4f09, v11
	v_mul_hi_u32 v12, v11, 3
	v_sub_u32_e32 v13, v11, v12
	v_lshrrev_b32_e32 v13, 1, v13
	v_add_u32_e32 v12, v13, v12
	v_lshrrev_b32_e32 v12, 30, v12
	s_brev_b32 s0, -2
	v_mul_lo_u32 v12, v12, s0
	v_sub_u32_e32 v11, v11, v12
	v_max_u32_e32 v13, 1, v11
	s_movk_i32 s3, 0x2710
	v_mov_b32_e32 v11, 0
	s_mov_b32 s4, 0xbc8f1391
	s_mov_b32 s5, 0xbc8f
	s_brev_b32 s8, 12
	s_mov_b32 s9, 0xf800000
	v_mov_b32_e32 v12, 0x260
.LBB29_271:                             ; =>This Inner Loop Header: Depth=1
	v_mul_hi_u32 v14, v13, s4
	v_lshrrev_b32_e32 v14, 15, v14
	v_mul_u32_u24_e32 v16, 0xadc8, v14
	v_sub_u32_e32 v13, v13, v16
	v_mul_u32_u24_e32 v14, 0xd47, v14
	v_mul_lo_u32 v13, v13, s5
	v_xor_b32_e32 v16, 0x7fffffff, v14
	v_sub_u32_e32 v17, 0, v14
	v_cmp_lt_u32_e32 vcc, v13, v14
	v_cndmask_b32_e32 v14, v17, v16, vcc
	v_add_u32_e32 v13, v14, v13
	v_mul_hi_u32 v16, v13, s4
	v_lshrrev_b32_e32 v16, 15, v16
	v_mul_u32_u24_e32 v17, 0xadc8, v16
	v_add_u32_e32 v14, -1, v13
	v_sub_u32_e32 v13, v13, v17
	v_mul_u32_u24_e32 v16, 0xd47, v16
	v_mul_lo_u32 v13, v13, s5
	v_xor_b32_e32 v17, 0x7fffffff, v16
	v_sub_u32_e32 v18, 0, v16
	v_cmp_lt_u32_e32 vcc, v13, v16
	v_cndmask_b32_e32 v16, v18, v17, vcc
	v_add_u32_e32 v13, v16, v13
	v_mul_hi_u32 v17, v13, s4
	v_add_u32_e32 v16, -1, v13
	v_lshrrev_b32_e32 v17, 15, v17
	v_cvt_f32_u32_e32 v16, v16
	v_mul_u32_u24_e32 v18, 0xadc8, v17
	v_cvt_f32_u32_e32 v14, v14
	v_sub_u32_e32 v13, v13, v18
	v_mul_u32_u24_e32 v17, 0xd47, v17
	v_mul_lo_u32 v13, v13, s5
	v_xor_b32_e32 v18, 0x7fffffff, v17
	v_sub_u32_e32 v19, 0, v17
	v_cmp_lt_u32_e32 vcc, v13, v17
	v_fma_f32 v16, v16, s8, 0
	v_cndmask_b32_e32 v17, v19, v18, vcc
	v_fma_f32 v14, v14, s8, 0
	v_mul_f32_e32 v16, v16, v16
	v_add_u32_e32 v13, v17, v13
	v_fmac_f32_e32 v16, v14, v14
	v_mul_hi_u32 v17, v13, s4
	v_mul_f32_e32 v18, 0x4f800000, v16
	v_lshrrev_b32_e32 v17, 15, v17
	v_cmp_gt_f32_e32 vcc, s9, v16
	v_cndmask_b32_e32 v16, v16, v18, vcc
	v_mul_u32_u24_e32 v18, 0xadc8, v17
	v_add_u32_e32 v14, -1, v13
	v_sqrt_f32_e32 v19, v16
	v_sub_u32_e32 v13, v13, v18
	v_mul_u32_u24_e32 v17, 0xd47, v17
	v_mul_lo_u32 v13, v13, s5
	v_xor_b32_e32 v18, 0x7fffffff, v17
	v_sub_u32_e32 v20, 0, v17
	v_cmp_lt_u32_e64 s[0:1], v13, v17
	v_cndmask_b32_e64 v17, v20, v18, s[0:1]
	v_add_u32_e32 v13, v17, v13
	v_add_u32_e32 v17, -1, v19
	v_add_u32_e32 v18, 1, v19
	v_add_u32_e32 v20, -1, v13
	v_fma_f32 v21, -v17, v19, v16
	v_fma_f32 v22, -v18, v19, v16
	v_cvt_f32_u32_e32 v20, v20
	v_cmp_ge_f32_e64 s[0:1], 0, v21
	v_cvt_f32_u32_e32 v14, v14
	v_cndmask_b32_e64 v17, v19, v17, s[0:1]
	v_cmp_lt_f32_e64 s[0:1], 0, v22
	v_cndmask_b32_e64 v17, v17, v18, s[0:1]
	v_mul_f32_e32 v18, 0x37800000, v17
	v_cndmask_b32_e32 v17, v17, v18, vcc
	v_fma_f32 v18, v20, s8, 0
	v_cmp_class_f32_e32 vcc, v16, v12
	v_fma_f32 v14, v14, s8, 0
	v_cndmask_b32_e32 v16, v17, v16, vcc
	v_mul_f32_e32 v17, v18, v18
	v_add_f32_e32 v15, 1.0, v11
	v_cmp_nge_f32_e32 vcc, 1.0, v16
	v_fmac_f32_e32 v17, v14, v14
	v_cndmask_b32_e32 v11, v15, v11, vcc
	v_mul_f32_e32 v14, 0x4f800000, v17
	v_cmp_gt_f32_e32 vcc, s9, v17
	v_cndmask_b32_e32 v14, v17, v14, vcc
	v_sqrt_f32_e32 v16, v14
	s_add_i32 s3, s3, -2
	v_add_f32_e32 v15, 1.0, v11
	s_cmp_lg_u32 s3, 0
	v_add_u32_e32 v17, -1, v16
	v_add_u32_e32 v18, 1, v16
	v_fma_f32 v19, -v17, v16, v14
	v_fma_f32 v20, -v18, v16, v14
	v_cmp_ge_f32_e64 s[0:1], 0, v19
	v_cndmask_b32_e64 v16, v16, v17, s[0:1]
	v_cmp_lt_f32_e64 s[0:1], 0, v20
	v_cndmask_b32_e64 v16, v16, v18, s[0:1]
	v_mul_f32_e32 v17, 0x37800000, v16
	v_cndmask_b32_e32 v16, v16, v17, vcc
	v_cmp_class_f32_e32 vcc, v14, v12
	v_cndmask_b32_e32 v14, v16, v14, vcc
	v_cmp_nge_f32_e32 vcc, 1.0, v14
	v_cndmask_b32_e32 v11, v15, v11, vcc
	s_cbranch_scc1 .LBB29_271
; %bb.272:
	v_add_u32_e32 v12, 0x7f256216, v5
	v_lshrrev_b32_e32 v13, 19, v12
	v_xor_b32_e32 v12, v12, v13
	v_xor_b32_e32 v12, 0xc761c23c, v12
	v_lshl_add_u32 v12, v12, 5, v12
	v_mov_b32_e32 v14, 0xaccf6200
	v_add_u32_e32 v13, 0xe9f8cc1d, v12
	v_lshl_add_u32 v12, v12, 9, v14
	v_xor_b32_e32 v12, v13, v12
	v_lshlrev_b32_e32 v13, 3, v12
	s_mov_b32 s0, 0xfd7046c5
	v_add3_u32 v12, v12, v13, s0
	v_xor_b32_sdwa v12, v12, v12 dst_sel:DWORD dst_unused:UNUSED_PAD src0_sel:DWORD src1_sel:WORD_1
	v_xor_b32_e32 v12, 0xb55a4f09, v12
	v_mul_hi_u32 v13, v12, 3
	v_sub_u32_e32 v14, v12, v13
	v_lshrrev_b32_e32 v14, 1, v14
	v_add_u32_e32 v13, v14, v13
	v_lshrrev_b32_e32 v13, 30, v13
	s_brev_b32 s0, -2
	v_mul_lo_u32 v13, v13, s0
	v_sub_u32_e32 v12, v12, v13
	v_max_u32_e32 v14, 1, v12
	s_movk_i32 s3, 0x2710
	v_mov_b32_e32 v12, 0
	s_mov_b32 s4, 0xbc8f1391
	s_mov_b32 s5, 0xbc8f
	s_brev_b32 s8, 12
	s_mov_b32 s9, 0xf800000
	v_mov_b32_e32 v13, 0x260
.LBB29_273:                             ; =>This Inner Loop Header: Depth=1
	v_mul_hi_u32 v15, v14, s4
	v_lshrrev_b32_e32 v15, 15, v15
	v_mul_u32_u24_e32 v17, 0xadc8, v15
	v_sub_u32_e32 v14, v14, v17
	v_mul_u32_u24_e32 v15, 0xd47, v15
	v_mul_lo_u32 v14, v14, s5
	v_xor_b32_e32 v17, 0x7fffffff, v15
	v_sub_u32_e32 v18, 0, v15
	v_cmp_lt_u32_e32 vcc, v14, v15
	v_cndmask_b32_e32 v15, v18, v17, vcc
	v_add_u32_e32 v14, v15, v14
	v_mul_hi_u32 v17, v14, s4
	v_lshrrev_b32_e32 v17, 15, v17
	v_mul_u32_u24_e32 v18, 0xadc8, v17
	v_add_u32_e32 v15, -1, v14
	v_sub_u32_e32 v14, v14, v18
	v_mul_u32_u24_e32 v17, 0xd47, v17
	v_mul_lo_u32 v14, v14, s5
	v_xor_b32_e32 v18, 0x7fffffff, v17
	v_sub_u32_e32 v19, 0, v17
	v_cmp_lt_u32_e32 vcc, v14, v17
	v_cndmask_b32_e32 v17, v19, v18, vcc
	v_add_u32_e32 v14, v17, v14
	v_mul_hi_u32 v18, v14, s4
	v_add_u32_e32 v17, -1, v14
	v_lshrrev_b32_e32 v18, 15, v18
	v_cvt_f32_u32_e32 v17, v17
	v_mul_u32_u24_e32 v19, 0xadc8, v18
	v_cvt_f32_u32_e32 v15, v15
	v_sub_u32_e32 v14, v14, v19
	v_mul_u32_u24_e32 v18, 0xd47, v18
	v_mul_lo_u32 v14, v14, s5
	v_xor_b32_e32 v19, 0x7fffffff, v18
	v_sub_u32_e32 v20, 0, v18
	v_cmp_lt_u32_e32 vcc, v14, v18
	v_fma_f32 v17, v17, s8, 0
	v_cndmask_b32_e32 v18, v20, v19, vcc
	v_fma_f32 v15, v15, s8, 0
	v_mul_f32_e32 v17, v17, v17
	v_add_u32_e32 v14, v18, v14
	v_fmac_f32_e32 v17, v15, v15
	v_mul_hi_u32 v18, v14, s4
	v_mul_f32_e32 v19, 0x4f800000, v17
	v_lshrrev_b32_e32 v18, 15, v18
	v_cmp_gt_f32_e32 vcc, s9, v17
	v_cndmask_b32_e32 v17, v17, v19, vcc
	v_mul_u32_u24_e32 v19, 0xadc8, v18
	v_add_u32_e32 v15, -1, v14
	v_sqrt_f32_e32 v20, v17
	v_sub_u32_e32 v14, v14, v19
	v_mul_u32_u24_e32 v18, 0xd47, v18
	v_mul_lo_u32 v14, v14, s5
	v_xor_b32_e32 v19, 0x7fffffff, v18
	v_sub_u32_e32 v21, 0, v18
	v_cmp_lt_u32_e64 s[0:1], v14, v18
	v_cndmask_b32_e64 v18, v21, v19, s[0:1]
	v_add_u32_e32 v14, v18, v14
	v_add_u32_e32 v18, -1, v20
	v_add_u32_e32 v19, 1, v20
	v_add_u32_e32 v21, -1, v14
	v_fma_f32 v22, -v18, v20, v17
	v_fma_f32 v23, -v19, v20, v17
	v_cvt_f32_u32_e32 v21, v21
	v_cmp_ge_f32_e64 s[0:1], 0, v22
	v_cvt_f32_u32_e32 v15, v15
	v_cndmask_b32_e64 v18, v20, v18, s[0:1]
	v_cmp_lt_f32_e64 s[0:1], 0, v23
	v_cndmask_b32_e64 v18, v18, v19, s[0:1]
	v_mul_f32_e32 v19, 0x37800000, v18
	v_cndmask_b32_e32 v18, v18, v19, vcc
	v_fma_f32 v19, v21, s8, 0
	v_cmp_class_f32_e32 vcc, v17, v13
	v_fma_f32 v15, v15, s8, 0
	v_cndmask_b32_e32 v17, v18, v17, vcc
	v_mul_f32_e32 v18, v19, v19
	v_add_f32_e32 v16, 1.0, v12
	v_cmp_nge_f32_e32 vcc, 1.0, v17
	v_fmac_f32_e32 v18, v15, v15
	v_cndmask_b32_e32 v12, v16, v12, vcc
	v_mul_f32_e32 v15, 0x4f800000, v18
	v_cmp_gt_f32_e32 vcc, s9, v18
	v_cndmask_b32_e32 v15, v18, v15, vcc
	v_sqrt_f32_e32 v17, v15
	s_add_i32 s3, s3, -2
	v_add_f32_e32 v16, 1.0, v12
	s_cmp_lg_u32 s3, 0
	v_add_u32_e32 v18, -1, v17
	v_add_u32_e32 v19, 1, v17
	v_fma_f32 v20, -v18, v17, v15
	v_fma_f32 v21, -v19, v17, v15
	v_cmp_ge_f32_e64 s[0:1], 0, v20
	v_cndmask_b32_e64 v17, v17, v18, s[0:1]
	v_cmp_lt_f32_e64 s[0:1], 0, v21
	v_cndmask_b32_e64 v17, v17, v19, s[0:1]
	v_mul_f32_e32 v18, 0x37800000, v17
	v_cndmask_b32_e32 v17, v17, v18, vcc
	v_cmp_class_f32_e32 vcc, v15, v13
	v_cndmask_b32_e32 v15, v17, v15, vcc
	v_cmp_nge_f32_e32 vcc, 1.0, v15
	v_cndmask_b32_e32 v12, v16, v12, vcc
	s_cbranch_scc1 .LBB29_273
; %bb.274:
	v_add_u32_e32 v13, 0x7f2d6296, v5
	v_lshrrev_b32_e32 v14, 19, v13
	v_xor_b32_e32 v13, v13, v14
	v_xor_b32_e32 v13, 0xc761c23c, v13
	v_lshl_add_u32 v13, v13, 5, v13
	v_mov_b32_e32 v15, 0xaccf6200
	v_add_u32_e32 v14, 0xe9f8cc1d, v13
	v_lshl_add_u32 v13, v13, 9, v15
	v_xor_b32_e32 v13, v14, v13
	v_lshlrev_b32_e32 v14, 3, v13
	s_mov_b32 s0, 0xfd7046c5
	v_add3_u32 v13, v13, v14, s0
	v_xor_b32_sdwa v13, v13, v13 dst_sel:DWORD dst_unused:UNUSED_PAD src0_sel:DWORD src1_sel:WORD_1
	v_xor_b32_e32 v13, 0xb55a4f09, v13
	v_mul_hi_u32 v14, v13, 3
	v_sub_u32_e32 v15, v13, v14
	v_lshrrev_b32_e32 v15, 1, v15
	v_add_u32_e32 v14, v15, v14
	v_lshrrev_b32_e32 v14, 30, v14
	s_brev_b32 s0, -2
	v_mul_lo_u32 v14, v14, s0
	v_sub_u32_e32 v13, v13, v14
	v_max_u32_e32 v15, 1, v13
	s_movk_i32 s3, 0x2710
	v_mov_b32_e32 v13, 0
	s_mov_b32 s4, 0xbc8f1391
	s_mov_b32 s5, 0xbc8f
	s_brev_b32 s8, 12
	s_mov_b32 s9, 0xf800000
	v_mov_b32_e32 v14, 0x260
.LBB29_275:                             ; =>This Inner Loop Header: Depth=1
	v_mul_hi_u32 v16, v15, s4
	v_lshrrev_b32_e32 v16, 15, v16
	v_mul_u32_u24_e32 v18, 0xadc8, v16
	v_sub_u32_e32 v15, v15, v18
	v_mul_u32_u24_e32 v16, 0xd47, v16
	v_mul_lo_u32 v15, v15, s5
	v_xor_b32_e32 v18, 0x7fffffff, v16
	v_sub_u32_e32 v19, 0, v16
	v_cmp_lt_u32_e32 vcc, v15, v16
	v_cndmask_b32_e32 v16, v19, v18, vcc
	v_add_u32_e32 v15, v16, v15
	v_mul_hi_u32 v18, v15, s4
	v_lshrrev_b32_e32 v18, 15, v18
	v_mul_u32_u24_e32 v19, 0xadc8, v18
	v_add_u32_e32 v16, -1, v15
	v_sub_u32_e32 v15, v15, v19
	v_mul_u32_u24_e32 v18, 0xd47, v18
	v_mul_lo_u32 v15, v15, s5
	v_xor_b32_e32 v19, 0x7fffffff, v18
	v_sub_u32_e32 v20, 0, v18
	v_cmp_lt_u32_e32 vcc, v15, v18
	v_cndmask_b32_e32 v18, v20, v19, vcc
	v_add_u32_e32 v15, v18, v15
	v_mul_hi_u32 v19, v15, s4
	v_add_u32_e32 v18, -1, v15
	v_lshrrev_b32_e32 v19, 15, v19
	v_cvt_f32_u32_e32 v18, v18
	v_mul_u32_u24_e32 v20, 0xadc8, v19
	v_cvt_f32_u32_e32 v16, v16
	v_sub_u32_e32 v15, v15, v20
	v_mul_u32_u24_e32 v19, 0xd47, v19
	v_mul_lo_u32 v15, v15, s5
	v_xor_b32_e32 v20, 0x7fffffff, v19
	v_sub_u32_e32 v21, 0, v19
	v_cmp_lt_u32_e32 vcc, v15, v19
	v_fma_f32 v18, v18, s8, 0
	v_cndmask_b32_e32 v19, v21, v20, vcc
	v_fma_f32 v16, v16, s8, 0
	v_mul_f32_e32 v18, v18, v18
	v_add_u32_e32 v15, v19, v15
	v_fmac_f32_e32 v18, v16, v16
	v_mul_hi_u32 v19, v15, s4
	v_mul_f32_e32 v20, 0x4f800000, v18
	v_lshrrev_b32_e32 v19, 15, v19
	v_cmp_gt_f32_e32 vcc, s9, v18
	v_cndmask_b32_e32 v18, v18, v20, vcc
	v_mul_u32_u24_e32 v20, 0xadc8, v19
	v_add_u32_e32 v16, -1, v15
	v_sqrt_f32_e32 v21, v18
	v_sub_u32_e32 v15, v15, v20
	v_mul_u32_u24_e32 v19, 0xd47, v19
	v_mul_lo_u32 v15, v15, s5
	v_xor_b32_e32 v20, 0x7fffffff, v19
	v_sub_u32_e32 v22, 0, v19
	v_cmp_lt_u32_e64 s[0:1], v15, v19
	v_cndmask_b32_e64 v19, v22, v20, s[0:1]
	v_add_u32_e32 v15, v19, v15
	v_add_u32_e32 v19, -1, v21
	v_add_u32_e32 v20, 1, v21
	v_add_u32_e32 v22, -1, v15
	v_fma_f32 v23, -v19, v21, v18
	v_fma_f32 v24, -v20, v21, v18
	v_cvt_f32_u32_e32 v22, v22
	v_cmp_ge_f32_e64 s[0:1], 0, v23
	v_cvt_f32_u32_e32 v16, v16
	v_cndmask_b32_e64 v19, v21, v19, s[0:1]
	v_cmp_lt_f32_e64 s[0:1], 0, v24
	v_cndmask_b32_e64 v19, v19, v20, s[0:1]
	v_mul_f32_e32 v20, 0x37800000, v19
	v_cndmask_b32_e32 v19, v19, v20, vcc
	v_fma_f32 v20, v22, s8, 0
	v_cmp_class_f32_e32 vcc, v18, v14
	v_fma_f32 v16, v16, s8, 0
	v_cndmask_b32_e32 v18, v19, v18, vcc
	v_mul_f32_e32 v19, v20, v20
	v_add_f32_e32 v17, 1.0, v13
	v_cmp_nge_f32_e32 vcc, 1.0, v18
	v_fmac_f32_e32 v19, v16, v16
	v_cndmask_b32_e32 v13, v17, v13, vcc
	v_mul_f32_e32 v16, 0x4f800000, v19
	v_cmp_gt_f32_e32 vcc, s9, v19
	v_cndmask_b32_e32 v16, v19, v16, vcc
	v_sqrt_f32_e32 v18, v16
	s_add_i32 s3, s3, -2
	v_add_f32_e32 v17, 1.0, v13
	s_cmp_lg_u32 s3, 0
	v_add_u32_e32 v19, -1, v18
	v_add_u32_e32 v20, 1, v18
	v_fma_f32 v21, -v19, v18, v16
	v_fma_f32 v22, -v20, v18, v16
	v_cmp_ge_f32_e64 s[0:1], 0, v21
	v_cndmask_b32_e64 v18, v18, v19, s[0:1]
	v_cmp_lt_f32_e64 s[0:1], 0, v22
	v_cndmask_b32_e64 v18, v18, v20, s[0:1]
	v_mul_f32_e32 v19, 0x37800000, v18
	v_cndmask_b32_e32 v18, v18, v19, vcc
	v_cmp_class_f32_e32 vcc, v16, v14
	v_cndmask_b32_e32 v16, v18, v16, vcc
	v_cmp_nge_f32_e32 vcc, 1.0, v16
	v_cndmask_b32_e32 v13, v17, v13, vcc
	s_cbranch_scc1 .LBB29_275
; %bb.276:
	v_add_u32_e32 v14, 0x7f356316, v5
	v_lshrrev_b32_e32 v15, 19, v14
	v_xor_b32_e32 v14, v14, v15
	v_xor_b32_e32 v14, 0xc761c23c, v14
	v_lshl_add_u32 v14, v14, 5, v14
	v_mov_b32_e32 v16, 0xaccf6200
	v_add_u32_e32 v15, 0xe9f8cc1d, v14
	v_lshl_add_u32 v14, v14, 9, v16
	v_xor_b32_e32 v14, v15, v14
	v_lshlrev_b32_e32 v15, 3, v14
	s_mov_b32 s0, 0xfd7046c5
	v_add3_u32 v14, v14, v15, s0
	v_xor_b32_sdwa v14, v14, v14 dst_sel:DWORD dst_unused:UNUSED_PAD src0_sel:DWORD src1_sel:WORD_1
	v_xor_b32_e32 v14, 0xb55a4f09, v14
	v_mul_hi_u32 v15, v14, 3
	v_sub_u32_e32 v16, v14, v15
	v_lshrrev_b32_e32 v16, 1, v16
	v_add_u32_e32 v15, v16, v15
	v_lshrrev_b32_e32 v15, 30, v15
	s_brev_b32 s0, -2
	v_mul_lo_u32 v15, v15, s0
	v_sub_u32_e32 v14, v14, v15
	v_max_u32_e32 v16, 1, v14
	s_movk_i32 s3, 0x2710
	v_mov_b32_e32 v14, 0
	s_mov_b32 s4, 0xbc8f1391
	s_mov_b32 s5, 0xbc8f
	s_brev_b32 s8, 12
	s_mov_b32 s9, 0xf800000
	v_mov_b32_e32 v15, 0x260
.LBB29_277:                             ; =>This Inner Loop Header: Depth=1
	v_mul_hi_u32 v17, v16, s4
	v_lshrrev_b32_e32 v17, 15, v17
	v_mul_u32_u24_e32 v19, 0xadc8, v17
	v_sub_u32_e32 v16, v16, v19
	v_mul_u32_u24_e32 v17, 0xd47, v17
	v_mul_lo_u32 v16, v16, s5
	v_xor_b32_e32 v19, 0x7fffffff, v17
	v_sub_u32_e32 v20, 0, v17
	v_cmp_lt_u32_e32 vcc, v16, v17
	v_cndmask_b32_e32 v17, v20, v19, vcc
	v_add_u32_e32 v16, v17, v16
	v_mul_hi_u32 v19, v16, s4
	v_lshrrev_b32_e32 v19, 15, v19
	v_mul_u32_u24_e32 v20, 0xadc8, v19
	v_add_u32_e32 v17, -1, v16
	v_sub_u32_e32 v16, v16, v20
	v_mul_u32_u24_e32 v19, 0xd47, v19
	v_mul_lo_u32 v16, v16, s5
	v_xor_b32_e32 v20, 0x7fffffff, v19
	v_sub_u32_e32 v21, 0, v19
	v_cmp_lt_u32_e32 vcc, v16, v19
	v_cndmask_b32_e32 v19, v21, v20, vcc
	v_add_u32_e32 v16, v19, v16
	v_mul_hi_u32 v20, v16, s4
	v_add_u32_e32 v19, -1, v16
	v_lshrrev_b32_e32 v20, 15, v20
	v_cvt_f32_u32_e32 v19, v19
	v_mul_u32_u24_e32 v21, 0xadc8, v20
	v_cvt_f32_u32_e32 v17, v17
	v_sub_u32_e32 v16, v16, v21
	v_mul_u32_u24_e32 v20, 0xd47, v20
	v_mul_lo_u32 v16, v16, s5
	v_xor_b32_e32 v21, 0x7fffffff, v20
	v_sub_u32_e32 v22, 0, v20
	v_cmp_lt_u32_e32 vcc, v16, v20
	v_fma_f32 v19, v19, s8, 0
	v_cndmask_b32_e32 v20, v22, v21, vcc
	v_fma_f32 v17, v17, s8, 0
	v_mul_f32_e32 v19, v19, v19
	v_add_u32_e32 v16, v20, v16
	v_fmac_f32_e32 v19, v17, v17
	v_mul_hi_u32 v20, v16, s4
	v_mul_f32_e32 v21, 0x4f800000, v19
	v_lshrrev_b32_e32 v20, 15, v20
	v_cmp_gt_f32_e32 vcc, s9, v19
	v_cndmask_b32_e32 v19, v19, v21, vcc
	v_mul_u32_u24_e32 v21, 0xadc8, v20
	v_add_u32_e32 v17, -1, v16
	v_sqrt_f32_e32 v22, v19
	v_sub_u32_e32 v16, v16, v21
	v_mul_u32_u24_e32 v20, 0xd47, v20
	v_mul_lo_u32 v16, v16, s5
	v_xor_b32_e32 v21, 0x7fffffff, v20
	v_sub_u32_e32 v23, 0, v20
	v_cmp_lt_u32_e64 s[0:1], v16, v20
	v_cndmask_b32_e64 v20, v23, v21, s[0:1]
	v_add_u32_e32 v16, v20, v16
	v_add_u32_e32 v20, -1, v22
	v_add_u32_e32 v21, 1, v22
	v_add_u32_e32 v23, -1, v16
	v_fma_f32 v24, -v20, v22, v19
	v_fma_f32 v25, -v21, v22, v19
	v_cvt_f32_u32_e32 v23, v23
	v_cmp_ge_f32_e64 s[0:1], 0, v24
	v_cvt_f32_u32_e32 v17, v17
	v_cndmask_b32_e64 v20, v22, v20, s[0:1]
	v_cmp_lt_f32_e64 s[0:1], 0, v25
	v_cndmask_b32_e64 v20, v20, v21, s[0:1]
	v_mul_f32_e32 v21, 0x37800000, v20
	v_cndmask_b32_e32 v20, v20, v21, vcc
	v_fma_f32 v21, v23, s8, 0
	v_cmp_class_f32_e32 vcc, v19, v15
	v_fma_f32 v17, v17, s8, 0
	v_cndmask_b32_e32 v19, v20, v19, vcc
	v_mul_f32_e32 v20, v21, v21
	v_add_f32_e32 v18, 1.0, v14
	v_cmp_nge_f32_e32 vcc, 1.0, v19
	v_fmac_f32_e32 v20, v17, v17
	v_cndmask_b32_e32 v14, v18, v14, vcc
	v_mul_f32_e32 v17, 0x4f800000, v20
	v_cmp_gt_f32_e32 vcc, s9, v20
	v_cndmask_b32_e32 v17, v20, v17, vcc
	v_sqrt_f32_e32 v19, v17
	s_add_i32 s3, s3, -2
	v_add_f32_e32 v18, 1.0, v14
	s_cmp_lg_u32 s3, 0
	v_add_u32_e32 v20, -1, v19
	v_add_u32_e32 v21, 1, v19
	v_fma_f32 v22, -v20, v19, v17
	v_fma_f32 v23, -v21, v19, v17
	v_cmp_ge_f32_e64 s[0:1], 0, v22
	v_cndmask_b32_e64 v19, v19, v20, s[0:1]
	v_cmp_lt_f32_e64 s[0:1], 0, v23
	v_cndmask_b32_e64 v19, v19, v21, s[0:1]
	v_mul_f32_e32 v20, 0x37800000, v19
	v_cndmask_b32_e32 v19, v19, v20, vcc
	v_cmp_class_f32_e32 vcc, v17, v15
	v_cndmask_b32_e32 v17, v19, v17, vcc
	v_cmp_nge_f32_e32 vcc, 1.0, v17
	v_cndmask_b32_e32 v14, v18, v14, vcc
	s_cbranch_scc1 .LBB29_277
; %bb.278:
	v_add_u32_e32 v15, 0x7f3d6396, v5
	v_lshrrev_b32_e32 v16, 19, v15
	v_xor_b32_e32 v15, v15, v16
	v_xor_b32_e32 v15, 0xc761c23c, v15
	v_lshl_add_u32 v15, v15, 5, v15
	v_mov_b32_e32 v17, 0xaccf6200
	v_add_u32_e32 v16, 0xe9f8cc1d, v15
	v_lshl_add_u32 v15, v15, 9, v17
	v_xor_b32_e32 v15, v16, v15
	v_lshlrev_b32_e32 v16, 3, v15
	s_mov_b32 s0, 0xfd7046c5
	v_add3_u32 v15, v15, v16, s0
	v_xor_b32_sdwa v15, v15, v15 dst_sel:DWORD dst_unused:UNUSED_PAD src0_sel:DWORD src1_sel:WORD_1
	v_xor_b32_e32 v15, 0xb55a4f09, v15
	v_mul_hi_u32 v16, v15, 3
	v_sub_u32_e32 v17, v15, v16
	v_lshrrev_b32_e32 v17, 1, v17
	v_add_u32_e32 v16, v17, v16
	v_lshrrev_b32_e32 v16, 30, v16
	s_brev_b32 s0, -2
	v_mul_lo_u32 v16, v16, s0
	v_sub_u32_e32 v15, v15, v16
	v_max_u32_e32 v17, 1, v15
	s_movk_i32 s3, 0x2710
	v_mov_b32_e32 v15, 0
	s_mov_b32 s4, 0xbc8f1391
	s_mov_b32 s5, 0xbc8f
	s_brev_b32 s8, 12
	s_mov_b32 s9, 0xf800000
	v_mov_b32_e32 v16, 0x260
.LBB29_279:                             ; =>This Inner Loop Header: Depth=1
	v_mul_hi_u32 v18, v17, s4
	v_lshrrev_b32_e32 v18, 15, v18
	v_mul_u32_u24_e32 v20, 0xadc8, v18
	v_sub_u32_e32 v17, v17, v20
	v_mul_u32_u24_e32 v18, 0xd47, v18
	v_mul_lo_u32 v17, v17, s5
	v_xor_b32_e32 v20, 0x7fffffff, v18
	v_sub_u32_e32 v21, 0, v18
	v_cmp_lt_u32_e32 vcc, v17, v18
	v_cndmask_b32_e32 v18, v21, v20, vcc
	v_add_u32_e32 v17, v18, v17
	v_mul_hi_u32 v20, v17, s4
	v_lshrrev_b32_e32 v20, 15, v20
	v_mul_u32_u24_e32 v21, 0xadc8, v20
	v_add_u32_e32 v18, -1, v17
	v_sub_u32_e32 v17, v17, v21
	v_mul_u32_u24_e32 v20, 0xd47, v20
	v_mul_lo_u32 v17, v17, s5
	v_xor_b32_e32 v21, 0x7fffffff, v20
	v_sub_u32_e32 v22, 0, v20
	v_cmp_lt_u32_e32 vcc, v17, v20
	v_cndmask_b32_e32 v20, v22, v21, vcc
	v_add_u32_e32 v17, v20, v17
	v_mul_hi_u32 v21, v17, s4
	v_add_u32_e32 v20, -1, v17
	v_lshrrev_b32_e32 v21, 15, v21
	v_cvt_f32_u32_e32 v20, v20
	v_mul_u32_u24_e32 v22, 0xadc8, v21
	v_cvt_f32_u32_e32 v18, v18
	v_sub_u32_e32 v17, v17, v22
	v_mul_u32_u24_e32 v21, 0xd47, v21
	v_mul_lo_u32 v17, v17, s5
	v_xor_b32_e32 v22, 0x7fffffff, v21
	v_sub_u32_e32 v23, 0, v21
	v_cmp_lt_u32_e32 vcc, v17, v21
	v_fma_f32 v20, v20, s8, 0
	v_cndmask_b32_e32 v21, v23, v22, vcc
	v_fma_f32 v18, v18, s8, 0
	v_mul_f32_e32 v20, v20, v20
	v_add_u32_e32 v17, v21, v17
	v_fmac_f32_e32 v20, v18, v18
	v_mul_hi_u32 v21, v17, s4
	v_mul_f32_e32 v22, 0x4f800000, v20
	v_lshrrev_b32_e32 v21, 15, v21
	v_cmp_gt_f32_e32 vcc, s9, v20
	v_cndmask_b32_e32 v20, v20, v22, vcc
	v_mul_u32_u24_e32 v22, 0xadc8, v21
	v_add_u32_e32 v18, -1, v17
	v_sqrt_f32_e32 v23, v20
	v_sub_u32_e32 v17, v17, v22
	v_mul_u32_u24_e32 v21, 0xd47, v21
	v_mul_lo_u32 v17, v17, s5
	v_xor_b32_e32 v22, 0x7fffffff, v21
	v_sub_u32_e32 v24, 0, v21
	v_cmp_lt_u32_e64 s[0:1], v17, v21
	v_cndmask_b32_e64 v21, v24, v22, s[0:1]
	v_add_u32_e32 v17, v21, v17
	v_add_u32_e32 v21, -1, v23
	v_add_u32_e32 v22, 1, v23
	v_add_u32_e32 v24, -1, v17
	v_fma_f32 v25, -v21, v23, v20
	v_fma_f32 v26, -v22, v23, v20
	v_cvt_f32_u32_e32 v24, v24
	v_cmp_ge_f32_e64 s[0:1], 0, v25
	v_cvt_f32_u32_e32 v18, v18
	v_cndmask_b32_e64 v21, v23, v21, s[0:1]
	v_cmp_lt_f32_e64 s[0:1], 0, v26
	v_cndmask_b32_e64 v21, v21, v22, s[0:1]
	v_mul_f32_e32 v22, 0x37800000, v21
	v_cndmask_b32_e32 v21, v21, v22, vcc
	v_fma_f32 v22, v24, s8, 0
	v_cmp_class_f32_e32 vcc, v20, v16
	v_fma_f32 v18, v18, s8, 0
	v_cndmask_b32_e32 v20, v21, v20, vcc
	v_mul_f32_e32 v21, v22, v22
	v_add_f32_e32 v19, 1.0, v15
	v_cmp_nge_f32_e32 vcc, 1.0, v20
	v_fmac_f32_e32 v21, v18, v18
	v_cndmask_b32_e32 v15, v19, v15, vcc
	v_mul_f32_e32 v18, 0x4f800000, v21
	v_cmp_gt_f32_e32 vcc, s9, v21
	v_cndmask_b32_e32 v18, v21, v18, vcc
	v_sqrt_f32_e32 v20, v18
	s_add_i32 s3, s3, -2
	v_add_f32_e32 v19, 1.0, v15
	s_cmp_lg_u32 s3, 0
	v_add_u32_e32 v21, -1, v20
	v_add_u32_e32 v22, 1, v20
	v_fma_f32 v23, -v21, v20, v18
	v_fma_f32 v24, -v22, v20, v18
	v_cmp_ge_f32_e64 s[0:1], 0, v23
	v_cndmask_b32_e64 v20, v20, v21, s[0:1]
	v_cmp_lt_f32_e64 s[0:1], 0, v24
	v_cndmask_b32_e64 v20, v20, v22, s[0:1]
	v_mul_f32_e32 v21, 0x37800000, v20
	v_cndmask_b32_e32 v20, v20, v21, vcc
	v_cmp_class_f32_e32 vcc, v18, v16
	v_cndmask_b32_e32 v18, v20, v18, vcc
	v_cmp_nge_f32_e32 vcc, 1.0, v18
	v_cndmask_b32_e32 v15, v19, v15, vcc
	s_cbranch_scc1 .LBB29_279
; %bb.280:
	v_add_u32_e32 v16, 0x7f456416, v5
	v_lshrrev_b32_e32 v17, 19, v16
	v_xor_b32_e32 v16, v16, v17
	v_xor_b32_e32 v16, 0xc761c23c, v16
	v_lshl_add_u32 v16, v16, 5, v16
	v_mov_b32_e32 v18, 0xaccf6200
	v_add_u32_e32 v17, 0xe9f8cc1d, v16
	v_lshl_add_u32 v16, v16, 9, v18
	v_xor_b32_e32 v16, v17, v16
	v_lshlrev_b32_e32 v17, 3, v16
	s_mov_b32 s0, 0xfd7046c5
	v_add3_u32 v16, v16, v17, s0
	v_xor_b32_sdwa v16, v16, v16 dst_sel:DWORD dst_unused:UNUSED_PAD src0_sel:DWORD src1_sel:WORD_1
	v_xor_b32_e32 v16, 0xb55a4f09, v16
	v_mul_hi_u32 v17, v16, 3
	v_sub_u32_e32 v18, v16, v17
	v_lshrrev_b32_e32 v18, 1, v18
	v_add_u32_e32 v17, v18, v17
	v_lshrrev_b32_e32 v17, 30, v17
	s_brev_b32 s0, -2
	v_mul_lo_u32 v17, v17, s0
	v_sub_u32_e32 v16, v16, v17
	v_max_u32_e32 v18, 1, v16
	s_movk_i32 s3, 0x2710
	v_mov_b32_e32 v16, 0
	s_mov_b32 s4, 0xbc8f1391
	s_mov_b32 s5, 0xbc8f
	s_brev_b32 s8, 12
	s_mov_b32 s9, 0xf800000
	v_mov_b32_e32 v17, 0x260
.LBB29_281:                             ; =>This Inner Loop Header: Depth=1
	v_mul_hi_u32 v19, v18, s4
	v_lshrrev_b32_e32 v19, 15, v19
	v_mul_u32_u24_e32 v21, 0xadc8, v19
	v_sub_u32_e32 v18, v18, v21
	v_mul_u32_u24_e32 v19, 0xd47, v19
	v_mul_lo_u32 v18, v18, s5
	v_xor_b32_e32 v21, 0x7fffffff, v19
	v_sub_u32_e32 v22, 0, v19
	v_cmp_lt_u32_e32 vcc, v18, v19
	v_cndmask_b32_e32 v19, v22, v21, vcc
	v_add_u32_e32 v18, v19, v18
	v_mul_hi_u32 v21, v18, s4
	v_lshrrev_b32_e32 v21, 15, v21
	v_mul_u32_u24_e32 v22, 0xadc8, v21
	v_add_u32_e32 v19, -1, v18
	v_sub_u32_e32 v18, v18, v22
	v_mul_u32_u24_e32 v21, 0xd47, v21
	v_mul_lo_u32 v18, v18, s5
	v_xor_b32_e32 v22, 0x7fffffff, v21
	v_sub_u32_e32 v23, 0, v21
	v_cmp_lt_u32_e32 vcc, v18, v21
	v_cndmask_b32_e32 v21, v23, v22, vcc
	v_add_u32_e32 v18, v21, v18
	v_mul_hi_u32 v22, v18, s4
	v_add_u32_e32 v21, -1, v18
	v_lshrrev_b32_e32 v22, 15, v22
	v_cvt_f32_u32_e32 v21, v21
	v_mul_u32_u24_e32 v23, 0xadc8, v22
	v_cvt_f32_u32_e32 v19, v19
	v_sub_u32_e32 v18, v18, v23
	v_mul_u32_u24_e32 v22, 0xd47, v22
	v_mul_lo_u32 v18, v18, s5
	v_xor_b32_e32 v23, 0x7fffffff, v22
	v_sub_u32_e32 v24, 0, v22
	v_cmp_lt_u32_e32 vcc, v18, v22
	v_fma_f32 v21, v21, s8, 0
	v_cndmask_b32_e32 v22, v24, v23, vcc
	v_fma_f32 v19, v19, s8, 0
	v_mul_f32_e32 v21, v21, v21
	v_add_u32_e32 v18, v22, v18
	v_fmac_f32_e32 v21, v19, v19
	v_mul_hi_u32 v22, v18, s4
	v_mul_f32_e32 v23, 0x4f800000, v21
	v_lshrrev_b32_e32 v22, 15, v22
	v_cmp_gt_f32_e32 vcc, s9, v21
	v_cndmask_b32_e32 v21, v21, v23, vcc
	v_mul_u32_u24_e32 v23, 0xadc8, v22
	v_add_u32_e32 v19, -1, v18
	v_sqrt_f32_e32 v24, v21
	v_sub_u32_e32 v18, v18, v23
	v_mul_u32_u24_e32 v22, 0xd47, v22
	v_mul_lo_u32 v18, v18, s5
	v_xor_b32_e32 v23, 0x7fffffff, v22
	v_sub_u32_e32 v25, 0, v22
	v_cmp_lt_u32_e64 s[0:1], v18, v22
	v_cndmask_b32_e64 v22, v25, v23, s[0:1]
	v_add_u32_e32 v18, v22, v18
	v_add_u32_e32 v22, -1, v24
	v_add_u32_e32 v23, 1, v24
	v_add_u32_e32 v25, -1, v18
	v_fma_f32 v26, -v22, v24, v21
	v_fma_f32 v27, -v23, v24, v21
	v_cvt_f32_u32_e32 v25, v25
	v_cmp_ge_f32_e64 s[0:1], 0, v26
	v_cvt_f32_u32_e32 v19, v19
	v_cndmask_b32_e64 v22, v24, v22, s[0:1]
	v_cmp_lt_f32_e64 s[0:1], 0, v27
	v_cndmask_b32_e64 v22, v22, v23, s[0:1]
	v_mul_f32_e32 v23, 0x37800000, v22
	v_cndmask_b32_e32 v22, v22, v23, vcc
	v_fma_f32 v23, v25, s8, 0
	v_cmp_class_f32_e32 vcc, v21, v17
	v_fma_f32 v19, v19, s8, 0
	v_cndmask_b32_e32 v21, v22, v21, vcc
	v_mul_f32_e32 v22, v23, v23
	v_add_f32_e32 v20, 1.0, v16
	v_cmp_nge_f32_e32 vcc, 1.0, v21
	v_fmac_f32_e32 v22, v19, v19
	v_cndmask_b32_e32 v16, v20, v16, vcc
	v_mul_f32_e32 v19, 0x4f800000, v22
	v_cmp_gt_f32_e32 vcc, s9, v22
	v_cndmask_b32_e32 v19, v22, v19, vcc
	v_sqrt_f32_e32 v21, v19
	s_add_i32 s3, s3, -2
	v_add_f32_e32 v20, 1.0, v16
	s_cmp_lg_u32 s3, 0
	v_add_u32_e32 v22, -1, v21
	v_add_u32_e32 v23, 1, v21
	v_fma_f32 v24, -v22, v21, v19
	v_fma_f32 v25, -v23, v21, v19
	v_cmp_ge_f32_e64 s[0:1], 0, v24
	v_cndmask_b32_e64 v21, v21, v22, s[0:1]
	v_cmp_lt_f32_e64 s[0:1], 0, v25
	v_cndmask_b32_e64 v21, v21, v23, s[0:1]
	v_mul_f32_e32 v22, 0x37800000, v21
	v_cndmask_b32_e32 v21, v21, v22, vcc
	v_cmp_class_f32_e32 vcc, v19, v17
	v_cndmask_b32_e32 v19, v21, v19, vcc
	v_cmp_nge_f32_e32 vcc, 1.0, v19
	v_cndmask_b32_e32 v16, v20, v16, vcc
	s_cbranch_scc1 .LBB29_281
; %bb.282:
	v_add_u32_e32 v17, 0x7f4d6496, v5
	v_lshrrev_b32_e32 v18, 19, v17
	v_xor_b32_e32 v17, v17, v18
	v_xor_b32_e32 v17, 0xc761c23c, v17
	v_lshl_add_u32 v17, v17, 5, v17
	v_mov_b32_e32 v19, 0xaccf6200
	v_add_u32_e32 v18, 0xe9f8cc1d, v17
	v_lshl_add_u32 v17, v17, 9, v19
	v_xor_b32_e32 v17, v18, v17
	v_lshlrev_b32_e32 v18, 3, v17
	s_mov_b32 s0, 0xfd7046c5
	v_add3_u32 v17, v17, v18, s0
	v_xor_b32_sdwa v17, v17, v17 dst_sel:DWORD dst_unused:UNUSED_PAD src0_sel:DWORD src1_sel:WORD_1
	v_xor_b32_e32 v17, 0xb55a4f09, v17
	v_mul_hi_u32 v18, v17, 3
	v_sub_u32_e32 v19, v17, v18
	v_lshrrev_b32_e32 v19, 1, v19
	v_add_u32_e32 v18, v19, v18
	v_lshrrev_b32_e32 v18, 30, v18
	s_brev_b32 s0, -2
	v_mul_lo_u32 v18, v18, s0
	v_sub_u32_e32 v17, v17, v18
	v_max_u32_e32 v19, 1, v17
	s_movk_i32 s3, 0x2710
	v_mov_b32_e32 v17, 0
	s_mov_b32 s4, 0xbc8f1391
	s_mov_b32 s5, 0xbc8f
	s_brev_b32 s8, 12
	s_mov_b32 s9, 0xf800000
	v_mov_b32_e32 v18, 0x260
.LBB29_283:                             ; =>This Inner Loop Header: Depth=1
	v_mul_hi_u32 v20, v19, s4
	v_lshrrev_b32_e32 v20, 15, v20
	v_mul_u32_u24_e32 v22, 0xadc8, v20
	v_sub_u32_e32 v19, v19, v22
	v_mul_u32_u24_e32 v20, 0xd47, v20
	v_mul_lo_u32 v19, v19, s5
	v_xor_b32_e32 v22, 0x7fffffff, v20
	v_sub_u32_e32 v23, 0, v20
	v_cmp_lt_u32_e32 vcc, v19, v20
	v_cndmask_b32_e32 v20, v23, v22, vcc
	v_add_u32_e32 v19, v20, v19
	v_mul_hi_u32 v22, v19, s4
	v_lshrrev_b32_e32 v22, 15, v22
	v_mul_u32_u24_e32 v23, 0xadc8, v22
	v_add_u32_e32 v20, -1, v19
	v_sub_u32_e32 v19, v19, v23
	v_mul_u32_u24_e32 v22, 0xd47, v22
	v_mul_lo_u32 v19, v19, s5
	v_xor_b32_e32 v23, 0x7fffffff, v22
	v_sub_u32_e32 v24, 0, v22
	v_cmp_lt_u32_e32 vcc, v19, v22
	v_cndmask_b32_e32 v22, v24, v23, vcc
	v_add_u32_e32 v19, v22, v19
	v_mul_hi_u32 v23, v19, s4
	v_add_u32_e32 v22, -1, v19
	v_lshrrev_b32_e32 v23, 15, v23
	v_cvt_f32_u32_e32 v22, v22
	v_mul_u32_u24_e32 v24, 0xadc8, v23
	v_cvt_f32_u32_e32 v20, v20
	v_sub_u32_e32 v19, v19, v24
	v_mul_u32_u24_e32 v23, 0xd47, v23
	v_mul_lo_u32 v19, v19, s5
	v_xor_b32_e32 v24, 0x7fffffff, v23
	v_sub_u32_e32 v25, 0, v23
	v_cmp_lt_u32_e32 vcc, v19, v23
	v_fma_f32 v22, v22, s8, 0
	v_cndmask_b32_e32 v23, v25, v24, vcc
	v_fma_f32 v20, v20, s8, 0
	v_mul_f32_e32 v22, v22, v22
	v_add_u32_e32 v19, v23, v19
	v_fmac_f32_e32 v22, v20, v20
	v_mul_hi_u32 v23, v19, s4
	v_mul_f32_e32 v24, 0x4f800000, v22
	v_lshrrev_b32_e32 v23, 15, v23
	v_cmp_gt_f32_e32 vcc, s9, v22
	v_cndmask_b32_e32 v22, v22, v24, vcc
	v_mul_u32_u24_e32 v24, 0xadc8, v23
	v_add_u32_e32 v20, -1, v19
	v_sqrt_f32_e32 v25, v22
	v_sub_u32_e32 v19, v19, v24
	v_mul_u32_u24_e32 v23, 0xd47, v23
	v_mul_lo_u32 v19, v19, s5
	v_xor_b32_e32 v24, 0x7fffffff, v23
	v_sub_u32_e32 v26, 0, v23
	v_cmp_lt_u32_e64 s[0:1], v19, v23
	v_cndmask_b32_e64 v23, v26, v24, s[0:1]
	v_add_u32_e32 v19, v23, v19
	v_add_u32_e32 v23, -1, v25
	v_add_u32_e32 v24, 1, v25
	v_add_u32_e32 v26, -1, v19
	v_fma_f32 v27, -v23, v25, v22
	v_fma_f32 v28, -v24, v25, v22
	v_cvt_f32_u32_e32 v26, v26
	v_cmp_ge_f32_e64 s[0:1], 0, v27
	v_cvt_f32_u32_e32 v20, v20
	v_cndmask_b32_e64 v23, v25, v23, s[0:1]
	v_cmp_lt_f32_e64 s[0:1], 0, v28
	v_cndmask_b32_e64 v23, v23, v24, s[0:1]
	v_mul_f32_e32 v24, 0x37800000, v23
	v_cndmask_b32_e32 v23, v23, v24, vcc
	v_fma_f32 v24, v26, s8, 0
	v_cmp_class_f32_e32 vcc, v22, v18
	v_fma_f32 v20, v20, s8, 0
	v_cndmask_b32_e32 v22, v23, v22, vcc
	v_mul_f32_e32 v23, v24, v24
	v_add_f32_e32 v21, 1.0, v17
	v_cmp_nge_f32_e32 vcc, 1.0, v22
	v_fmac_f32_e32 v23, v20, v20
	v_cndmask_b32_e32 v17, v21, v17, vcc
	v_mul_f32_e32 v20, 0x4f800000, v23
	v_cmp_gt_f32_e32 vcc, s9, v23
	v_cndmask_b32_e32 v20, v23, v20, vcc
	v_sqrt_f32_e32 v22, v20
	s_add_i32 s3, s3, -2
	v_add_f32_e32 v21, 1.0, v17
	s_cmp_lg_u32 s3, 0
	v_add_u32_e32 v23, -1, v22
	v_add_u32_e32 v24, 1, v22
	v_fma_f32 v25, -v23, v22, v20
	v_fma_f32 v26, -v24, v22, v20
	v_cmp_ge_f32_e64 s[0:1], 0, v25
	v_cndmask_b32_e64 v22, v22, v23, s[0:1]
	v_cmp_lt_f32_e64 s[0:1], 0, v26
	v_cndmask_b32_e64 v22, v22, v24, s[0:1]
	v_mul_f32_e32 v23, 0x37800000, v22
	v_cndmask_b32_e32 v22, v22, v23, vcc
	v_cmp_class_f32_e32 vcc, v20, v18
	v_cndmask_b32_e32 v20, v22, v20, vcc
	v_cmp_nge_f32_e32 vcc, 1.0, v20
	v_cndmask_b32_e32 v17, v21, v17, vcc
	s_cbranch_scc1 .LBB29_283
; %bb.284:
	v_add_u32_e32 v18, 0x7f556516, v5
	v_lshrrev_b32_e32 v19, 19, v18
	v_xor_b32_e32 v18, v18, v19
	v_xor_b32_e32 v18, 0xc761c23c, v18
	v_lshl_add_u32 v18, v18, 5, v18
	v_mov_b32_e32 v20, 0xaccf6200
	v_add_u32_e32 v19, 0xe9f8cc1d, v18
	v_lshl_add_u32 v18, v18, 9, v20
	v_xor_b32_e32 v18, v19, v18
	v_lshlrev_b32_e32 v19, 3, v18
	s_mov_b32 s0, 0xfd7046c5
	v_add3_u32 v18, v18, v19, s0
	v_xor_b32_sdwa v18, v18, v18 dst_sel:DWORD dst_unused:UNUSED_PAD src0_sel:DWORD src1_sel:WORD_1
	v_xor_b32_e32 v18, 0xb55a4f09, v18
	v_mul_hi_u32 v19, v18, 3
	v_sub_u32_e32 v20, v18, v19
	v_lshrrev_b32_e32 v20, 1, v20
	v_add_u32_e32 v19, v20, v19
	v_lshrrev_b32_e32 v19, 30, v19
	s_brev_b32 s0, -2
	v_mul_lo_u32 v19, v19, s0
	v_sub_u32_e32 v18, v18, v19
	v_max_u32_e32 v20, 1, v18
	s_movk_i32 s3, 0x2710
	v_mov_b32_e32 v18, 0
	s_mov_b32 s4, 0xbc8f1391
	s_mov_b32 s5, 0xbc8f
	s_brev_b32 s8, 12
	s_mov_b32 s9, 0xf800000
	v_mov_b32_e32 v19, 0x260
.LBB29_285:                             ; =>This Inner Loop Header: Depth=1
	v_mul_hi_u32 v21, v20, s4
	v_lshrrev_b32_e32 v21, 15, v21
	v_mul_u32_u24_e32 v23, 0xadc8, v21
	v_sub_u32_e32 v20, v20, v23
	v_mul_u32_u24_e32 v21, 0xd47, v21
	v_mul_lo_u32 v20, v20, s5
	v_xor_b32_e32 v23, 0x7fffffff, v21
	v_sub_u32_e32 v24, 0, v21
	v_cmp_lt_u32_e32 vcc, v20, v21
	v_cndmask_b32_e32 v21, v24, v23, vcc
	v_add_u32_e32 v20, v21, v20
	v_mul_hi_u32 v23, v20, s4
	v_lshrrev_b32_e32 v23, 15, v23
	v_mul_u32_u24_e32 v24, 0xadc8, v23
	v_add_u32_e32 v21, -1, v20
	v_sub_u32_e32 v20, v20, v24
	v_mul_u32_u24_e32 v23, 0xd47, v23
	v_mul_lo_u32 v20, v20, s5
	v_xor_b32_e32 v24, 0x7fffffff, v23
	v_sub_u32_e32 v25, 0, v23
	v_cmp_lt_u32_e32 vcc, v20, v23
	v_cndmask_b32_e32 v23, v25, v24, vcc
	v_add_u32_e32 v20, v23, v20
	v_mul_hi_u32 v24, v20, s4
	v_add_u32_e32 v23, -1, v20
	v_lshrrev_b32_e32 v24, 15, v24
	v_cvt_f32_u32_e32 v23, v23
	v_mul_u32_u24_e32 v25, 0xadc8, v24
	v_cvt_f32_u32_e32 v21, v21
	v_sub_u32_e32 v20, v20, v25
	v_mul_u32_u24_e32 v24, 0xd47, v24
	v_mul_lo_u32 v20, v20, s5
	v_xor_b32_e32 v25, 0x7fffffff, v24
	v_sub_u32_e32 v26, 0, v24
	v_cmp_lt_u32_e32 vcc, v20, v24
	v_fma_f32 v23, v23, s8, 0
	v_cndmask_b32_e32 v24, v26, v25, vcc
	v_fma_f32 v21, v21, s8, 0
	v_mul_f32_e32 v23, v23, v23
	v_add_u32_e32 v20, v24, v20
	v_fmac_f32_e32 v23, v21, v21
	v_mul_hi_u32 v24, v20, s4
	v_mul_f32_e32 v25, 0x4f800000, v23
	v_lshrrev_b32_e32 v24, 15, v24
	v_cmp_gt_f32_e32 vcc, s9, v23
	v_cndmask_b32_e32 v23, v23, v25, vcc
	v_mul_u32_u24_e32 v25, 0xadc8, v24
	v_add_u32_e32 v21, -1, v20
	v_sqrt_f32_e32 v26, v23
	v_sub_u32_e32 v20, v20, v25
	v_mul_u32_u24_e32 v24, 0xd47, v24
	v_mul_lo_u32 v20, v20, s5
	v_xor_b32_e32 v25, 0x7fffffff, v24
	v_sub_u32_e32 v27, 0, v24
	v_cmp_lt_u32_e64 s[0:1], v20, v24
	v_cndmask_b32_e64 v24, v27, v25, s[0:1]
	v_add_u32_e32 v20, v24, v20
	v_add_u32_e32 v24, -1, v26
	v_add_u32_e32 v25, 1, v26
	v_add_u32_e32 v27, -1, v20
	v_fma_f32 v28, -v24, v26, v23
	v_fma_f32 v29, -v25, v26, v23
	v_cvt_f32_u32_e32 v27, v27
	v_cmp_ge_f32_e64 s[0:1], 0, v28
	v_cvt_f32_u32_e32 v21, v21
	v_cndmask_b32_e64 v24, v26, v24, s[0:1]
	v_cmp_lt_f32_e64 s[0:1], 0, v29
	v_cndmask_b32_e64 v24, v24, v25, s[0:1]
	v_mul_f32_e32 v25, 0x37800000, v24
	v_cndmask_b32_e32 v24, v24, v25, vcc
	v_fma_f32 v25, v27, s8, 0
	v_cmp_class_f32_e32 vcc, v23, v19
	v_fma_f32 v21, v21, s8, 0
	v_cndmask_b32_e32 v23, v24, v23, vcc
	v_mul_f32_e32 v24, v25, v25
	v_add_f32_e32 v22, 1.0, v18
	v_cmp_nge_f32_e32 vcc, 1.0, v23
	v_fmac_f32_e32 v24, v21, v21
	v_cndmask_b32_e32 v18, v22, v18, vcc
	v_mul_f32_e32 v21, 0x4f800000, v24
	v_cmp_gt_f32_e32 vcc, s9, v24
	v_cndmask_b32_e32 v21, v24, v21, vcc
	v_sqrt_f32_e32 v23, v21
	s_add_i32 s3, s3, -2
	v_add_f32_e32 v22, 1.0, v18
	s_cmp_lg_u32 s3, 0
	v_add_u32_e32 v24, -1, v23
	v_add_u32_e32 v25, 1, v23
	v_fma_f32 v26, -v24, v23, v21
	v_fma_f32 v27, -v25, v23, v21
	v_cmp_ge_f32_e64 s[0:1], 0, v26
	v_cndmask_b32_e64 v23, v23, v24, s[0:1]
	v_cmp_lt_f32_e64 s[0:1], 0, v27
	v_cndmask_b32_e64 v23, v23, v25, s[0:1]
	v_mul_f32_e32 v24, 0x37800000, v23
	v_cndmask_b32_e32 v23, v23, v24, vcc
	v_cmp_class_f32_e32 vcc, v21, v19
	v_cndmask_b32_e32 v21, v23, v21, vcc
	v_cmp_nge_f32_e32 vcc, 1.0, v21
	v_cndmask_b32_e32 v18, v22, v18, vcc
	s_cbranch_scc1 .LBB29_285
; %bb.286:
	v_add_u32_e32 v19, 0x7f5d6596, v5
	v_lshrrev_b32_e32 v20, 19, v19
	v_xor_b32_e32 v19, v19, v20
	v_xor_b32_e32 v19, 0xc761c23c, v19
	v_lshl_add_u32 v19, v19, 5, v19
	v_mov_b32_e32 v21, 0xaccf6200
	v_add_u32_e32 v20, 0xe9f8cc1d, v19
	v_lshl_add_u32 v19, v19, 9, v21
	v_xor_b32_e32 v19, v20, v19
	v_lshlrev_b32_e32 v20, 3, v19
	s_mov_b32 s0, 0xfd7046c5
	v_add3_u32 v19, v19, v20, s0
	v_xor_b32_sdwa v19, v19, v19 dst_sel:DWORD dst_unused:UNUSED_PAD src0_sel:DWORD src1_sel:WORD_1
	v_xor_b32_e32 v19, 0xb55a4f09, v19
	v_mul_hi_u32 v20, v19, 3
	v_sub_u32_e32 v21, v19, v20
	v_lshrrev_b32_e32 v21, 1, v21
	v_add_u32_e32 v20, v21, v20
	v_lshrrev_b32_e32 v20, 30, v20
	s_brev_b32 s0, -2
	v_mul_lo_u32 v20, v20, s0
	v_sub_u32_e32 v19, v19, v20
	v_max_u32_e32 v21, 1, v19
	s_movk_i32 s3, 0x2710
	v_mov_b32_e32 v19, 0
	s_mov_b32 s4, 0xbc8f1391
	s_mov_b32 s5, 0xbc8f
	s_brev_b32 s8, 12
	s_mov_b32 s9, 0xf800000
	v_mov_b32_e32 v20, 0x260
.LBB29_287:                             ; =>This Inner Loop Header: Depth=1
	v_mul_hi_u32 v22, v21, s4
	v_lshrrev_b32_e32 v22, 15, v22
	v_mul_u32_u24_e32 v24, 0xadc8, v22
	v_sub_u32_e32 v21, v21, v24
	v_mul_u32_u24_e32 v22, 0xd47, v22
	v_mul_lo_u32 v21, v21, s5
	v_xor_b32_e32 v24, 0x7fffffff, v22
	v_sub_u32_e32 v25, 0, v22
	v_cmp_lt_u32_e32 vcc, v21, v22
	v_cndmask_b32_e32 v22, v25, v24, vcc
	v_add_u32_e32 v21, v22, v21
	v_mul_hi_u32 v24, v21, s4
	v_lshrrev_b32_e32 v24, 15, v24
	v_mul_u32_u24_e32 v25, 0xadc8, v24
	v_add_u32_e32 v22, -1, v21
	v_sub_u32_e32 v21, v21, v25
	v_mul_u32_u24_e32 v24, 0xd47, v24
	v_mul_lo_u32 v21, v21, s5
	v_xor_b32_e32 v25, 0x7fffffff, v24
	v_sub_u32_e32 v26, 0, v24
	v_cmp_lt_u32_e32 vcc, v21, v24
	v_cndmask_b32_e32 v24, v26, v25, vcc
	v_add_u32_e32 v21, v24, v21
	v_mul_hi_u32 v25, v21, s4
	v_add_u32_e32 v24, -1, v21
	v_lshrrev_b32_e32 v25, 15, v25
	v_cvt_f32_u32_e32 v24, v24
	v_mul_u32_u24_e32 v26, 0xadc8, v25
	v_cvt_f32_u32_e32 v22, v22
	v_sub_u32_e32 v21, v21, v26
	v_mul_u32_u24_e32 v25, 0xd47, v25
	v_mul_lo_u32 v21, v21, s5
	v_xor_b32_e32 v26, 0x7fffffff, v25
	v_sub_u32_e32 v27, 0, v25
	v_cmp_lt_u32_e32 vcc, v21, v25
	v_fma_f32 v24, v24, s8, 0
	v_cndmask_b32_e32 v25, v27, v26, vcc
	v_fma_f32 v22, v22, s8, 0
	v_mul_f32_e32 v24, v24, v24
	v_add_u32_e32 v21, v25, v21
	v_fmac_f32_e32 v24, v22, v22
	v_mul_hi_u32 v25, v21, s4
	v_mul_f32_e32 v26, 0x4f800000, v24
	v_lshrrev_b32_e32 v25, 15, v25
	v_cmp_gt_f32_e32 vcc, s9, v24
	v_cndmask_b32_e32 v24, v24, v26, vcc
	v_mul_u32_u24_e32 v26, 0xadc8, v25
	v_add_u32_e32 v22, -1, v21
	v_sqrt_f32_e32 v27, v24
	v_sub_u32_e32 v21, v21, v26
	v_mul_u32_u24_e32 v25, 0xd47, v25
	v_mul_lo_u32 v21, v21, s5
	v_xor_b32_e32 v26, 0x7fffffff, v25
	v_sub_u32_e32 v28, 0, v25
	v_cmp_lt_u32_e64 s[0:1], v21, v25
	v_cndmask_b32_e64 v25, v28, v26, s[0:1]
	v_add_u32_e32 v21, v25, v21
	v_add_u32_e32 v25, -1, v27
	v_add_u32_e32 v26, 1, v27
	v_add_u32_e32 v28, -1, v21
	v_fma_f32 v29, -v25, v27, v24
	v_fma_f32 v30, -v26, v27, v24
	v_cvt_f32_u32_e32 v28, v28
	v_cmp_ge_f32_e64 s[0:1], 0, v29
	v_cvt_f32_u32_e32 v22, v22
	v_cndmask_b32_e64 v25, v27, v25, s[0:1]
	v_cmp_lt_f32_e64 s[0:1], 0, v30
	v_cndmask_b32_e64 v25, v25, v26, s[0:1]
	v_mul_f32_e32 v26, 0x37800000, v25
	v_cndmask_b32_e32 v25, v25, v26, vcc
	v_fma_f32 v26, v28, s8, 0
	v_cmp_class_f32_e32 vcc, v24, v20
	v_fma_f32 v22, v22, s8, 0
	v_cndmask_b32_e32 v24, v25, v24, vcc
	v_mul_f32_e32 v25, v26, v26
	v_add_f32_e32 v23, 1.0, v19
	v_cmp_nge_f32_e32 vcc, 1.0, v24
	v_fmac_f32_e32 v25, v22, v22
	v_cndmask_b32_e32 v19, v23, v19, vcc
	v_mul_f32_e32 v22, 0x4f800000, v25
	v_cmp_gt_f32_e32 vcc, s9, v25
	v_cndmask_b32_e32 v22, v25, v22, vcc
	v_sqrt_f32_e32 v24, v22
	s_add_i32 s3, s3, -2
	v_add_f32_e32 v23, 1.0, v19
	s_cmp_lg_u32 s3, 0
	v_add_u32_e32 v25, -1, v24
	v_add_u32_e32 v26, 1, v24
	v_fma_f32 v27, -v25, v24, v22
	v_fma_f32 v28, -v26, v24, v22
	v_cmp_ge_f32_e64 s[0:1], 0, v27
	v_cndmask_b32_e64 v24, v24, v25, s[0:1]
	v_cmp_lt_f32_e64 s[0:1], 0, v28
	v_cndmask_b32_e64 v24, v24, v26, s[0:1]
	v_mul_f32_e32 v25, 0x37800000, v24
	v_cndmask_b32_e32 v24, v24, v25, vcc
	v_cmp_class_f32_e32 vcc, v22, v20
	v_cndmask_b32_e32 v22, v24, v22, vcc
	v_cmp_nge_f32_e32 vcc, 1.0, v22
	v_cndmask_b32_e32 v19, v23, v19, vcc
	s_cbranch_scc1 .LBB29_287
; %bb.288:
	v_add_u32_e32 v20, 0x7f656616, v5
	v_lshrrev_b32_e32 v21, 19, v20
	v_xor_b32_e32 v20, v20, v21
	v_xor_b32_e32 v20, 0xc761c23c, v20
	v_lshl_add_u32 v20, v20, 5, v20
	v_mov_b32_e32 v22, 0xaccf6200
	v_add_u32_e32 v21, 0xe9f8cc1d, v20
	v_lshl_add_u32 v20, v20, 9, v22
	v_xor_b32_e32 v20, v21, v20
	v_lshlrev_b32_e32 v21, 3, v20
	s_mov_b32 s0, 0xfd7046c5
	v_add3_u32 v20, v20, v21, s0
	v_xor_b32_sdwa v20, v20, v20 dst_sel:DWORD dst_unused:UNUSED_PAD src0_sel:DWORD src1_sel:WORD_1
	v_xor_b32_e32 v20, 0xb55a4f09, v20
	v_mul_hi_u32 v21, v20, 3
	v_sub_u32_e32 v22, v20, v21
	v_lshrrev_b32_e32 v22, 1, v22
	v_add_u32_e32 v21, v22, v21
	v_lshrrev_b32_e32 v21, 30, v21
	s_brev_b32 s0, -2
	v_mul_lo_u32 v21, v21, s0
	v_sub_u32_e32 v20, v20, v21
	v_max_u32_e32 v22, 1, v20
	s_movk_i32 s3, 0x2710
	v_mov_b32_e32 v20, 0
	s_mov_b32 s4, 0xbc8f1391
	s_mov_b32 s5, 0xbc8f
	s_brev_b32 s8, 12
	s_mov_b32 s9, 0xf800000
	v_mov_b32_e32 v21, 0x260
.LBB29_289:                             ; =>This Inner Loop Header: Depth=1
	v_mul_hi_u32 v23, v22, s4
	v_lshrrev_b32_e32 v23, 15, v23
	v_mul_u32_u24_e32 v25, 0xadc8, v23
	v_sub_u32_e32 v22, v22, v25
	v_mul_u32_u24_e32 v23, 0xd47, v23
	v_mul_lo_u32 v22, v22, s5
	v_xor_b32_e32 v25, 0x7fffffff, v23
	v_sub_u32_e32 v26, 0, v23
	v_cmp_lt_u32_e32 vcc, v22, v23
	v_cndmask_b32_e32 v23, v26, v25, vcc
	v_add_u32_e32 v22, v23, v22
	v_mul_hi_u32 v25, v22, s4
	v_lshrrev_b32_e32 v25, 15, v25
	v_mul_u32_u24_e32 v26, 0xadc8, v25
	v_add_u32_e32 v23, -1, v22
	v_sub_u32_e32 v22, v22, v26
	v_mul_u32_u24_e32 v25, 0xd47, v25
	v_mul_lo_u32 v22, v22, s5
	v_xor_b32_e32 v26, 0x7fffffff, v25
	v_sub_u32_e32 v27, 0, v25
	v_cmp_lt_u32_e32 vcc, v22, v25
	v_cndmask_b32_e32 v25, v27, v26, vcc
	v_add_u32_e32 v22, v25, v22
	v_mul_hi_u32 v26, v22, s4
	v_add_u32_e32 v25, -1, v22
	v_lshrrev_b32_e32 v26, 15, v26
	v_cvt_f32_u32_e32 v25, v25
	v_mul_u32_u24_e32 v27, 0xadc8, v26
	v_cvt_f32_u32_e32 v23, v23
	v_sub_u32_e32 v22, v22, v27
	v_mul_u32_u24_e32 v26, 0xd47, v26
	v_mul_lo_u32 v22, v22, s5
	v_xor_b32_e32 v27, 0x7fffffff, v26
	v_sub_u32_e32 v28, 0, v26
	v_cmp_lt_u32_e32 vcc, v22, v26
	v_fma_f32 v25, v25, s8, 0
	v_cndmask_b32_e32 v26, v28, v27, vcc
	v_fma_f32 v23, v23, s8, 0
	v_mul_f32_e32 v25, v25, v25
	v_add_u32_e32 v22, v26, v22
	v_fmac_f32_e32 v25, v23, v23
	v_mul_hi_u32 v26, v22, s4
	v_mul_f32_e32 v27, 0x4f800000, v25
	v_lshrrev_b32_e32 v26, 15, v26
	v_cmp_gt_f32_e32 vcc, s9, v25
	v_cndmask_b32_e32 v25, v25, v27, vcc
	v_mul_u32_u24_e32 v27, 0xadc8, v26
	v_add_u32_e32 v23, -1, v22
	v_sqrt_f32_e32 v28, v25
	v_sub_u32_e32 v22, v22, v27
	v_mul_u32_u24_e32 v26, 0xd47, v26
	v_mul_lo_u32 v22, v22, s5
	v_xor_b32_e32 v27, 0x7fffffff, v26
	v_sub_u32_e32 v29, 0, v26
	v_cmp_lt_u32_e64 s[0:1], v22, v26
	v_cndmask_b32_e64 v26, v29, v27, s[0:1]
	v_add_u32_e32 v22, v26, v22
	v_add_u32_e32 v26, -1, v28
	v_add_u32_e32 v27, 1, v28
	v_add_u32_e32 v29, -1, v22
	v_fma_f32 v30, -v26, v28, v25
	v_fma_f32 v31, -v27, v28, v25
	v_cvt_f32_u32_e32 v29, v29
	v_cmp_ge_f32_e64 s[0:1], 0, v30
	v_cvt_f32_u32_e32 v23, v23
	v_cndmask_b32_e64 v26, v28, v26, s[0:1]
	v_cmp_lt_f32_e64 s[0:1], 0, v31
	v_cndmask_b32_e64 v26, v26, v27, s[0:1]
	v_mul_f32_e32 v27, 0x37800000, v26
	v_cndmask_b32_e32 v26, v26, v27, vcc
	v_fma_f32 v27, v29, s8, 0
	v_cmp_class_f32_e32 vcc, v25, v21
	v_fma_f32 v23, v23, s8, 0
	v_cndmask_b32_e32 v25, v26, v25, vcc
	v_mul_f32_e32 v26, v27, v27
	v_add_f32_e32 v24, 1.0, v20
	v_cmp_nge_f32_e32 vcc, 1.0, v25
	v_fmac_f32_e32 v26, v23, v23
	v_cndmask_b32_e32 v20, v24, v20, vcc
	v_mul_f32_e32 v23, 0x4f800000, v26
	v_cmp_gt_f32_e32 vcc, s9, v26
	v_cndmask_b32_e32 v23, v26, v23, vcc
	v_sqrt_f32_e32 v25, v23
	s_add_i32 s3, s3, -2
	v_add_f32_e32 v24, 1.0, v20
	s_cmp_lg_u32 s3, 0
	v_add_u32_e32 v26, -1, v25
	v_add_u32_e32 v27, 1, v25
	v_fma_f32 v28, -v26, v25, v23
	v_fma_f32 v29, -v27, v25, v23
	v_cmp_ge_f32_e64 s[0:1], 0, v28
	v_cndmask_b32_e64 v25, v25, v26, s[0:1]
	v_cmp_lt_f32_e64 s[0:1], 0, v29
	v_cndmask_b32_e64 v25, v25, v27, s[0:1]
	v_mul_f32_e32 v26, 0x37800000, v25
	v_cndmask_b32_e32 v25, v25, v26, vcc
	v_cmp_class_f32_e32 vcc, v23, v21
	v_cndmask_b32_e32 v23, v25, v23, vcc
	v_cmp_nge_f32_e32 vcc, 1.0, v23
	v_cndmask_b32_e32 v20, v24, v20, vcc
	s_cbranch_scc1 .LBB29_289
; %bb.290:
	v_add_u32_e32 v21, 0x7f6d6696, v5
	v_lshrrev_b32_e32 v22, 19, v21
	v_xor_b32_e32 v21, v21, v22
	v_xor_b32_e32 v21, 0xc761c23c, v21
	v_lshl_add_u32 v21, v21, 5, v21
	v_mov_b32_e32 v23, 0xaccf6200
	v_add_u32_e32 v22, 0xe9f8cc1d, v21
	v_lshl_add_u32 v21, v21, 9, v23
	v_xor_b32_e32 v21, v22, v21
	v_lshlrev_b32_e32 v22, 3, v21
	s_mov_b32 s0, 0xfd7046c5
	v_add3_u32 v21, v21, v22, s0
	v_xor_b32_sdwa v21, v21, v21 dst_sel:DWORD dst_unused:UNUSED_PAD src0_sel:DWORD src1_sel:WORD_1
	v_xor_b32_e32 v21, 0xb55a4f09, v21
	v_mul_hi_u32 v22, v21, 3
	v_sub_u32_e32 v23, v21, v22
	v_lshrrev_b32_e32 v23, 1, v23
	v_add_u32_e32 v22, v23, v22
	v_lshrrev_b32_e32 v22, 30, v22
	s_brev_b32 s0, -2
	v_mul_lo_u32 v22, v22, s0
	v_sub_u32_e32 v21, v21, v22
	v_max_u32_e32 v23, 1, v21
	s_movk_i32 s3, 0x2710
	v_mov_b32_e32 v21, 0
	s_mov_b32 s4, 0xbc8f1391
	s_mov_b32 s5, 0xbc8f
	s_brev_b32 s8, 12
	s_mov_b32 s9, 0xf800000
	v_mov_b32_e32 v22, 0x260
.LBB29_291:                             ; =>This Inner Loop Header: Depth=1
	v_mul_hi_u32 v24, v23, s4
	v_lshrrev_b32_e32 v24, 15, v24
	v_mul_u32_u24_e32 v26, 0xadc8, v24
	v_sub_u32_e32 v23, v23, v26
	v_mul_u32_u24_e32 v24, 0xd47, v24
	v_mul_lo_u32 v23, v23, s5
	v_xor_b32_e32 v26, 0x7fffffff, v24
	v_sub_u32_e32 v27, 0, v24
	v_cmp_lt_u32_e32 vcc, v23, v24
	v_cndmask_b32_e32 v24, v27, v26, vcc
	v_add_u32_e32 v23, v24, v23
	v_mul_hi_u32 v26, v23, s4
	v_lshrrev_b32_e32 v26, 15, v26
	v_mul_u32_u24_e32 v27, 0xadc8, v26
	v_add_u32_e32 v24, -1, v23
	v_sub_u32_e32 v23, v23, v27
	v_mul_u32_u24_e32 v26, 0xd47, v26
	v_mul_lo_u32 v23, v23, s5
	v_xor_b32_e32 v27, 0x7fffffff, v26
	v_sub_u32_e32 v28, 0, v26
	v_cmp_lt_u32_e32 vcc, v23, v26
	v_cndmask_b32_e32 v26, v28, v27, vcc
	v_add_u32_e32 v23, v26, v23
	v_mul_hi_u32 v27, v23, s4
	v_add_u32_e32 v26, -1, v23
	v_lshrrev_b32_e32 v27, 15, v27
	v_cvt_f32_u32_e32 v26, v26
	v_mul_u32_u24_e32 v28, 0xadc8, v27
	v_cvt_f32_u32_e32 v24, v24
	v_sub_u32_e32 v23, v23, v28
	v_mul_u32_u24_e32 v27, 0xd47, v27
	v_mul_lo_u32 v23, v23, s5
	v_xor_b32_e32 v28, 0x7fffffff, v27
	v_sub_u32_e32 v29, 0, v27
	v_cmp_lt_u32_e32 vcc, v23, v27
	v_fma_f32 v26, v26, s8, 0
	v_cndmask_b32_e32 v27, v29, v28, vcc
	v_fma_f32 v24, v24, s8, 0
	v_mul_f32_e32 v26, v26, v26
	v_add_u32_e32 v23, v27, v23
	v_fmac_f32_e32 v26, v24, v24
	v_mul_hi_u32 v27, v23, s4
	v_mul_f32_e32 v28, 0x4f800000, v26
	v_lshrrev_b32_e32 v27, 15, v27
	v_cmp_gt_f32_e32 vcc, s9, v26
	v_cndmask_b32_e32 v26, v26, v28, vcc
	v_mul_u32_u24_e32 v28, 0xadc8, v27
	v_add_u32_e32 v24, -1, v23
	v_sqrt_f32_e32 v29, v26
	v_sub_u32_e32 v23, v23, v28
	v_mul_u32_u24_e32 v27, 0xd47, v27
	v_mul_lo_u32 v23, v23, s5
	v_xor_b32_e32 v28, 0x7fffffff, v27
	v_sub_u32_e32 v30, 0, v27
	v_cmp_lt_u32_e64 s[0:1], v23, v27
	v_cndmask_b32_e64 v27, v30, v28, s[0:1]
	v_add_u32_e32 v23, v27, v23
	v_add_u32_e32 v27, -1, v29
	v_add_u32_e32 v28, 1, v29
	v_add_u32_e32 v30, -1, v23
	v_fma_f32 v31, -v27, v29, v26
	v_fma_f32 v32, -v28, v29, v26
	v_cvt_f32_u32_e32 v30, v30
	v_cmp_ge_f32_e64 s[0:1], 0, v31
	v_cvt_f32_u32_e32 v24, v24
	v_cndmask_b32_e64 v27, v29, v27, s[0:1]
	v_cmp_lt_f32_e64 s[0:1], 0, v32
	v_cndmask_b32_e64 v27, v27, v28, s[0:1]
	v_mul_f32_e32 v28, 0x37800000, v27
	v_cndmask_b32_e32 v27, v27, v28, vcc
	v_fma_f32 v28, v30, s8, 0
	v_cmp_class_f32_e32 vcc, v26, v22
	v_fma_f32 v24, v24, s8, 0
	v_cndmask_b32_e32 v26, v27, v26, vcc
	v_mul_f32_e32 v27, v28, v28
	v_add_f32_e32 v25, 1.0, v21
	v_cmp_nge_f32_e32 vcc, 1.0, v26
	v_fmac_f32_e32 v27, v24, v24
	v_cndmask_b32_e32 v21, v25, v21, vcc
	v_mul_f32_e32 v24, 0x4f800000, v27
	v_cmp_gt_f32_e32 vcc, s9, v27
	v_cndmask_b32_e32 v24, v27, v24, vcc
	v_sqrt_f32_e32 v26, v24
	s_add_i32 s3, s3, -2
	v_add_f32_e32 v25, 1.0, v21
	s_cmp_lg_u32 s3, 0
	v_add_u32_e32 v27, -1, v26
	v_add_u32_e32 v28, 1, v26
	v_fma_f32 v29, -v27, v26, v24
	v_fma_f32 v30, -v28, v26, v24
	v_cmp_ge_f32_e64 s[0:1], 0, v29
	v_cndmask_b32_e64 v26, v26, v27, s[0:1]
	v_cmp_lt_f32_e64 s[0:1], 0, v30
	v_cndmask_b32_e64 v26, v26, v28, s[0:1]
	v_mul_f32_e32 v27, 0x37800000, v26
	v_cndmask_b32_e32 v26, v26, v27, vcc
	v_cmp_class_f32_e32 vcc, v24, v22
	v_cndmask_b32_e32 v24, v26, v24, vcc
	v_cmp_nge_f32_e32 vcc, 1.0, v24
	v_cndmask_b32_e32 v21, v25, v21, vcc
	s_cbranch_scc1 .LBB29_291
; %bb.292:
	v_add_u32_e32 v22, 0x7f756716, v5
	v_lshrrev_b32_e32 v23, 19, v22
	v_xor_b32_e32 v22, v22, v23
	v_xor_b32_e32 v22, 0xc761c23c, v22
	v_lshl_add_u32 v22, v22, 5, v22
	v_mov_b32_e32 v24, 0xaccf6200
	v_add_u32_e32 v23, 0xe9f8cc1d, v22
	v_lshl_add_u32 v22, v22, 9, v24
	v_xor_b32_e32 v22, v23, v22
	v_lshlrev_b32_e32 v23, 3, v22
	s_mov_b32 s0, 0xfd7046c5
	v_add3_u32 v22, v22, v23, s0
	v_xor_b32_sdwa v22, v22, v22 dst_sel:DWORD dst_unused:UNUSED_PAD src0_sel:DWORD src1_sel:WORD_1
	v_xor_b32_e32 v22, 0xb55a4f09, v22
	v_mul_hi_u32 v23, v22, 3
	v_sub_u32_e32 v24, v22, v23
	v_lshrrev_b32_e32 v24, 1, v24
	v_add_u32_e32 v23, v24, v23
	v_lshrrev_b32_e32 v23, 30, v23
	s_brev_b32 s0, -2
	v_mul_lo_u32 v23, v23, s0
	v_sub_u32_e32 v22, v22, v23
	v_max_u32_e32 v24, 1, v22
	s_movk_i32 s3, 0x2710
	v_mov_b32_e32 v22, 0
	s_mov_b32 s4, 0xbc8f1391
	s_mov_b32 s5, 0xbc8f
	s_brev_b32 s8, 12
	s_mov_b32 s9, 0xf800000
	v_mov_b32_e32 v23, 0x260
.LBB29_293:                             ; =>This Inner Loop Header: Depth=1
	v_mul_hi_u32 v25, v24, s4
	v_lshrrev_b32_e32 v25, 15, v25
	v_mul_u32_u24_e32 v27, 0xadc8, v25
	v_sub_u32_e32 v24, v24, v27
	v_mul_u32_u24_e32 v25, 0xd47, v25
	v_mul_lo_u32 v24, v24, s5
	v_xor_b32_e32 v27, 0x7fffffff, v25
	v_sub_u32_e32 v28, 0, v25
	v_cmp_lt_u32_e32 vcc, v24, v25
	v_cndmask_b32_e32 v25, v28, v27, vcc
	v_add_u32_e32 v24, v25, v24
	v_mul_hi_u32 v27, v24, s4
	v_lshrrev_b32_e32 v27, 15, v27
	v_mul_u32_u24_e32 v28, 0xadc8, v27
	v_add_u32_e32 v25, -1, v24
	v_sub_u32_e32 v24, v24, v28
	v_mul_u32_u24_e32 v27, 0xd47, v27
	v_mul_lo_u32 v24, v24, s5
	v_xor_b32_e32 v28, 0x7fffffff, v27
	v_sub_u32_e32 v29, 0, v27
	v_cmp_lt_u32_e32 vcc, v24, v27
	v_cndmask_b32_e32 v27, v29, v28, vcc
	v_add_u32_e32 v24, v27, v24
	v_mul_hi_u32 v28, v24, s4
	v_add_u32_e32 v27, -1, v24
	v_lshrrev_b32_e32 v28, 15, v28
	v_cvt_f32_u32_e32 v27, v27
	v_mul_u32_u24_e32 v29, 0xadc8, v28
	v_cvt_f32_u32_e32 v25, v25
	v_sub_u32_e32 v24, v24, v29
	v_mul_u32_u24_e32 v28, 0xd47, v28
	v_mul_lo_u32 v24, v24, s5
	v_xor_b32_e32 v29, 0x7fffffff, v28
	v_sub_u32_e32 v30, 0, v28
	v_cmp_lt_u32_e32 vcc, v24, v28
	v_fma_f32 v27, v27, s8, 0
	v_cndmask_b32_e32 v28, v30, v29, vcc
	v_fma_f32 v25, v25, s8, 0
	v_mul_f32_e32 v27, v27, v27
	v_add_u32_e32 v24, v28, v24
	v_fmac_f32_e32 v27, v25, v25
	v_mul_hi_u32 v28, v24, s4
	v_mul_f32_e32 v29, 0x4f800000, v27
	v_lshrrev_b32_e32 v28, 15, v28
	v_cmp_gt_f32_e32 vcc, s9, v27
	v_cndmask_b32_e32 v27, v27, v29, vcc
	v_mul_u32_u24_e32 v29, 0xadc8, v28
	v_add_u32_e32 v25, -1, v24
	v_sqrt_f32_e32 v30, v27
	v_sub_u32_e32 v24, v24, v29
	v_mul_u32_u24_e32 v28, 0xd47, v28
	v_mul_lo_u32 v24, v24, s5
	v_xor_b32_e32 v29, 0x7fffffff, v28
	v_sub_u32_e32 v31, 0, v28
	v_cmp_lt_u32_e64 s[0:1], v24, v28
	v_cndmask_b32_e64 v28, v31, v29, s[0:1]
	v_add_u32_e32 v24, v28, v24
	v_add_u32_e32 v28, -1, v30
	v_add_u32_e32 v29, 1, v30
	v_add_u32_e32 v31, -1, v24
	v_fma_f32 v32, -v28, v30, v27
	v_fma_f32 v33, -v29, v30, v27
	v_cvt_f32_u32_e32 v31, v31
	v_cmp_ge_f32_e64 s[0:1], 0, v32
	v_cvt_f32_u32_e32 v25, v25
	v_cndmask_b32_e64 v28, v30, v28, s[0:1]
	v_cmp_lt_f32_e64 s[0:1], 0, v33
	v_cndmask_b32_e64 v28, v28, v29, s[0:1]
	v_mul_f32_e32 v29, 0x37800000, v28
	v_cndmask_b32_e32 v28, v28, v29, vcc
	v_fma_f32 v29, v31, s8, 0
	v_cmp_class_f32_e32 vcc, v27, v23
	v_fma_f32 v25, v25, s8, 0
	v_cndmask_b32_e32 v27, v28, v27, vcc
	v_mul_f32_e32 v28, v29, v29
	v_add_f32_e32 v26, 1.0, v22
	v_cmp_nge_f32_e32 vcc, 1.0, v27
	v_fmac_f32_e32 v28, v25, v25
	v_cndmask_b32_e32 v22, v26, v22, vcc
	v_mul_f32_e32 v25, 0x4f800000, v28
	v_cmp_gt_f32_e32 vcc, s9, v28
	v_cndmask_b32_e32 v25, v28, v25, vcc
	v_sqrt_f32_e32 v27, v25
	s_add_i32 s3, s3, -2
	v_add_f32_e32 v26, 1.0, v22
	s_cmp_lg_u32 s3, 0
	v_add_u32_e32 v28, -1, v27
	v_add_u32_e32 v29, 1, v27
	v_fma_f32 v30, -v28, v27, v25
	v_fma_f32 v31, -v29, v27, v25
	v_cmp_ge_f32_e64 s[0:1], 0, v30
	v_cndmask_b32_e64 v27, v27, v28, s[0:1]
	v_cmp_lt_f32_e64 s[0:1], 0, v31
	v_cndmask_b32_e64 v27, v27, v29, s[0:1]
	v_mul_f32_e32 v28, 0x37800000, v27
	v_cndmask_b32_e32 v27, v27, v28, vcc
	v_cmp_class_f32_e32 vcc, v25, v23
	v_cndmask_b32_e32 v25, v27, v25, vcc
	v_cmp_nge_f32_e32 vcc, 1.0, v25
	v_cndmask_b32_e32 v22, v26, v22, vcc
	s_cbranch_scc1 .LBB29_293
; %bb.294:
	v_add_u32_e32 v23, 0x7f7d6796, v5
	v_lshrrev_b32_e32 v24, 19, v23
	v_xor_b32_e32 v23, v23, v24
	v_xor_b32_e32 v23, 0xc761c23c, v23
	v_lshl_add_u32 v23, v23, 5, v23
	v_mov_b32_e32 v25, 0xaccf6200
	v_add_u32_e32 v24, 0xe9f8cc1d, v23
	v_lshl_add_u32 v23, v23, 9, v25
	v_xor_b32_e32 v23, v24, v23
	v_lshlrev_b32_e32 v24, 3, v23
	s_mov_b32 s0, 0xfd7046c5
	v_add3_u32 v23, v23, v24, s0
	v_xor_b32_sdwa v23, v23, v23 dst_sel:DWORD dst_unused:UNUSED_PAD src0_sel:DWORD src1_sel:WORD_1
	v_xor_b32_e32 v23, 0xb55a4f09, v23
	v_mul_hi_u32 v24, v23, 3
	v_sub_u32_e32 v25, v23, v24
	v_lshrrev_b32_e32 v25, 1, v25
	v_add_u32_e32 v24, v25, v24
	v_lshrrev_b32_e32 v24, 30, v24
	s_brev_b32 s0, -2
	v_mul_lo_u32 v24, v24, s0
	v_sub_u32_e32 v23, v23, v24
	v_max_u32_e32 v25, 1, v23
	s_movk_i32 s3, 0x2710
	v_mov_b32_e32 v23, 0
	s_mov_b32 s4, 0xbc8f1391
	s_mov_b32 s5, 0xbc8f
	s_brev_b32 s8, 12
	s_mov_b32 s9, 0xf800000
	v_mov_b32_e32 v24, 0x260
.LBB29_295:                             ; =>This Inner Loop Header: Depth=1
	v_mul_hi_u32 v26, v25, s4
	v_lshrrev_b32_e32 v26, 15, v26
	v_mul_u32_u24_e32 v28, 0xadc8, v26
	v_sub_u32_e32 v25, v25, v28
	v_mul_u32_u24_e32 v26, 0xd47, v26
	v_mul_lo_u32 v25, v25, s5
	v_xor_b32_e32 v28, 0x7fffffff, v26
	v_sub_u32_e32 v29, 0, v26
	v_cmp_lt_u32_e32 vcc, v25, v26
	v_cndmask_b32_e32 v26, v29, v28, vcc
	v_add_u32_e32 v25, v26, v25
	v_mul_hi_u32 v28, v25, s4
	v_lshrrev_b32_e32 v28, 15, v28
	v_mul_u32_u24_e32 v29, 0xadc8, v28
	v_add_u32_e32 v26, -1, v25
	v_sub_u32_e32 v25, v25, v29
	v_mul_u32_u24_e32 v28, 0xd47, v28
	v_mul_lo_u32 v25, v25, s5
	v_xor_b32_e32 v29, 0x7fffffff, v28
	v_sub_u32_e32 v30, 0, v28
	v_cmp_lt_u32_e32 vcc, v25, v28
	v_cndmask_b32_e32 v28, v30, v29, vcc
	v_add_u32_e32 v25, v28, v25
	v_mul_hi_u32 v29, v25, s4
	v_add_u32_e32 v28, -1, v25
	v_lshrrev_b32_e32 v29, 15, v29
	v_cvt_f32_u32_e32 v28, v28
	v_mul_u32_u24_e32 v30, 0xadc8, v29
	v_cvt_f32_u32_e32 v26, v26
	v_sub_u32_e32 v25, v25, v30
	v_mul_u32_u24_e32 v29, 0xd47, v29
	v_mul_lo_u32 v25, v25, s5
	v_xor_b32_e32 v30, 0x7fffffff, v29
	v_sub_u32_e32 v31, 0, v29
	v_cmp_lt_u32_e32 vcc, v25, v29
	v_fma_f32 v28, v28, s8, 0
	v_cndmask_b32_e32 v29, v31, v30, vcc
	v_fma_f32 v26, v26, s8, 0
	v_mul_f32_e32 v28, v28, v28
	v_add_u32_e32 v25, v29, v25
	v_fmac_f32_e32 v28, v26, v26
	v_mul_hi_u32 v29, v25, s4
	v_mul_f32_e32 v30, 0x4f800000, v28
	v_lshrrev_b32_e32 v29, 15, v29
	v_cmp_gt_f32_e32 vcc, s9, v28
	v_cndmask_b32_e32 v28, v28, v30, vcc
	v_mul_u32_u24_e32 v30, 0xadc8, v29
	v_add_u32_e32 v26, -1, v25
	v_sqrt_f32_e32 v31, v28
	v_sub_u32_e32 v25, v25, v30
	v_mul_u32_u24_e32 v29, 0xd47, v29
	v_mul_lo_u32 v25, v25, s5
	v_xor_b32_e32 v30, 0x7fffffff, v29
	v_sub_u32_e32 v32, 0, v29
	v_cmp_lt_u32_e64 s[0:1], v25, v29
	v_cndmask_b32_e64 v29, v32, v30, s[0:1]
	v_add_u32_e32 v25, v29, v25
	v_add_u32_e32 v29, -1, v31
	v_add_u32_e32 v30, 1, v31
	v_add_u32_e32 v32, -1, v25
	v_fma_f32 v33, -v29, v31, v28
	v_fma_f32 v34, -v30, v31, v28
	v_cvt_f32_u32_e32 v32, v32
	v_cmp_ge_f32_e64 s[0:1], 0, v33
	v_cvt_f32_u32_e32 v26, v26
	v_cndmask_b32_e64 v29, v31, v29, s[0:1]
	v_cmp_lt_f32_e64 s[0:1], 0, v34
	v_cndmask_b32_e64 v29, v29, v30, s[0:1]
	v_mul_f32_e32 v30, 0x37800000, v29
	v_cndmask_b32_e32 v29, v29, v30, vcc
	v_fma_f32 v30, v32, s8, 0
	v_cmp_class_f32_e32 vcc, v28, v24
	v_fma_f32 v26, v26, s8, 0
	v_cndmask_b32_e32 v28, v29, v28, vcc
	v_mul_f32_e32 v29, v30, v30
	v_add_f32_e32 v27, 1.0, v23
	v_cmp_nge_f32_e32 vcc, 1.0, v28
	v_fmac_f32_e32 v29, v26, v26
	v_cndmask_b32_e32 v23, v27, v23, vcc
	v_mul_f32_e32 v26, 0x4f800000, v29
	v_cmp_gt_f32_e32 vcc, s9, v29
	v_cndmask_b32_e32 v26, v29, v26, vcc
	v_sqrt_f32_e32 v28, v26
	s_add_i32 s3, s3, -2
	v_add_f32_e32 v27, 1.0, v23
	s_cmp_lg_u32 s3, 0
	v_add_u32_e32 v29, -1, v28
	v_add_u32_e32 v30, 1, v28
	v_fma_f32 v31, -v29, v28, v26
	v_fma_f32 v32, -v30, v28, v26
	v_cmp_ge_f32_e64 s[0:1], 0, v31
	v_cndmask_b32_e64 v28, v28, v29, s[0:1]
	v_cmp_lt_f32_e64 s[0:1], 0, v32
	v_cndmask_b32_e64 v28, v28, v30, s[0:1]
	v_mul_f32_e32 v29, 0x37800000, v28
	v_cndmask_b32_e32 v28, v28, v29, vcc
	v_cmp_class_f32_e32 vcc, v26, v24
	v_cndmask_b32_e32 v26, v28, v26, vcc
	v_cmp_nge_f32_e32 vcc, 1.0, v26
	v_cndmask_b32_e32 v23, v27, v23, vcc
	s_cbranch_scc1 .LBB29_295
; %bb.296:
	v_add_u32_e32 v24, 0x7f856816, v5
	v_lshrrev_b32_e32 v25, 19, v24
	v_xor_b32_e32 v24, v24, v25
	v_xor_b32_e32 v24, 0xc761c23c, v24
	v_lshl_add_u32 v24, v24, 5, v24
	v_mov_b32_e32 v26, 0xaccf6200
	v_add_u32_e32 v25, 0xe9f8cc1d, v24
	v_lshl_add_u32 v24, v24, 9, v26
	v_xor_b32_e32 v24, v25, v24
	v_lshlrev_b32_e32 v25, 3, v24
	s_mov_b32 s0, 0xfd7046c5
	v_add3_u32 v24, v24, v25, s0
	v_xor_b32_sdwa v24, v24, v24 dst_sel:DWORD dst_unused:UNUSED_PAD src0_sel:DWORD src1_sel:WORD_1
	v_xor_b32_e32 v24, 0xb55a4f09, v24
	v_mul_hi_u32 v25, v24, 3
	v_sub_u32_e32 v26, v24, v25
	v_lshrrev_b32_e32 v26, 1, v26
	v_add_u32_e32 v25, v26, v25
	v_lshrrev_b32_e32 v25, 30, v25
	s_brev_b32 s0, -2
	v_mul_lo_u32 v25, v25, s0
	v_sub_u32_e32 v24, v24, v25
	v_max_u32_e32 v26, 1, v24
	s_movk_i32 s3, 0x2710
	v_mov_b32_e32 v24, 0
	s_mov_b32 s4, 0xbc8f1391
	s_mov_b32 s5, 0xbc8f
	s_brev_b32 s8, 12
	s_mov_b32 s9, 0xf800000
	v_mov_b32_e32 v25, 0x260
.LBB29_297:                             ; =>This Inner Loop Header: Depth=1
	v_mul_hi_u32 v27, v26, s4
	v_lshrrev_b32_e32 v27, 15, v27
	v_mul_u32_u24_e32 v29, 0xadc8, v27
	v_sub_u32_e32 v26, v26, v29
	v_mul_u32_u24_e32 v27, 0xd47, v27
	v_mul_lo_u32 v26, v26, s5
	v_xor_b32_e32 v29, 0x7fffffff, v27
	v_sub_u32_e32 v30, 0, v27
	v_cmp_lt_u32_e32 vcc, v26, v27
	v_cndmask_b32_e32 v27, v30, v29, vcc
	v_add_u32_e32 v26, v27, v26
	v_mul_hi_u32 v29, v26, s4
	v_lshrrev_b32_e32 v29, 15, v29
	v_mul_u32_u24_e32 v30, 0xadc8, v29
	v_add_u32_e32 v27, -1, v26
	v_sub_u32_e32 v26, v26, v30
	v_mul_u32_u24_e32 v29, 0xd47, v29
	v_mul_lo_u32 v26, v26, s5
	v_xor_b32_e32 v30, 0x7fffffff, v29
	v_sub_u32_e32 v31, 0, v29
	v_cmp_lt_u32_e32 vcc, v26, v29
	v_cndmask_b32_e32 v29, v31, v30, vcc
	v_add_u32_e32 v26, v29, v26
	v_mul_hi_u32 v30, v26, s4
	v_add_u32_e32 v29, -1, v26
	v_lshrrev_b32_e32 v30, 15, v30
	v_cvt_f32_u32_e32 v29, v29
	v_mul_u32_u24_e32 v31, 0xadc8, v30
	v_cvt_f32_u32_e32 v27, v27
	v_sub_u32_e32 v26, v26, v31
	v_mul_u32_u24_e32 v30, 0xd47, v30
	v_mul_lo_u32 v26, v26, s5
	v_xor_b32_e32 v31, 0x7fffffff, v30
	v_sub_u32_e32 v32, 0, v30
	v_cmp_lt_u32_e32 vcc, v26, v30
	v_fma_f32 v29, v29, s8, 0
	v_cndmask_b32_e32 v30, v32, v31, vcc
	v_fma_f32 v27, v27, s8, 0
	v_mul_f32_e32 v29, v29, v29
	v_add_u32_e32 v26, v30, v26
	v_fmac_f32_e32 v29, v27, v27
	v_mul_hi_u32 v30, v26, s4
	v_mul_f32_e32 v31, 0x4f800000, v29
	v_lshrrev_b32_e32 v30, 15, v30
	v_cmp_gt_f32_e32 vcc, s9, v29
	v_cndmask_b32_e32 v29, v29, v31, vcc
	v_mul_u32_u24_e32 v31, 0xadc8, v30
	v_add_u32_e32 v27, -1, v26
	v_sqrt_f32_e32 v32, v29
	v_sub_u32_e32 v26, v26, v31
	v_mul_u32_u24_e32 v30, 0xd47, v30
	v_mul_lo_u32 v26, v26, s5
	v_xor_b32_e32 v31, 0x7fffffff, v30
	v_sub_u32_e32 v33, 0, v30
	v_cmp_lt_u32_e64 s[0:1], v26, v30
	v_cndmask_b32_e64 v30, v33, v31, s[0:1]
	v_add_u32_e32 v26, v30, v26
	v_add_u32_e32 v30, -1, v32
	v_add_u32_e32 v31, 1, v32
	v_add_u32_e32 v33, -1, v26
	v_fma_f32 v34, -v30, v32, v29
	v_fma_f32 v35, -v31, v32, v29
	v_cvt_f32_u32_e32 v33, v33
	v_cmp_ge_f32_e64 s[0:1], 0, v34
	v_cvt_f32_u32_e32 v27, v27
	v_cndmask_b32_e64 v30, v32, v30, s[0:1]
	v_cmp_lt_f32_e64 s[0:1], 0, v35
	v_cndmask_b32_e64 v30, v30, v31, s[0:1]
	v_mul_f32_e32 v31, 0x37800000, v30
	v_cndmask_b32_e32 v30, v30, v31, vcc
	v_fma_f32 v31, v33, s8, 0
	v_cmp_class_f32_e32 vcc, v29, v25
	v_fma_f32 v27, v27, s8, 0
	v_cndmask_b32_e32 v29, v30, v29, vcc
	v_mul_f32_e32 v30, v31, v31
	v_add_f32_e32 v28, 1.0, v24
	v_cmp_nge_f32_e32 vcc, 1.0, v29
	v_fmac_f32_e32 v30, v27, v27
	v_cndmask_b32_e32 v24, v28, v24, vcc
	v_mul_f32_e32 v27, 0x4f800000, v30
	v_cmp_gt_f32_e32 vcc, s9, v30
	v_cndmask_b32_e32 v27, v30, v27, vcc
	v_sqrt_f32_e32 v29, v27
	s_add_i32 s3, s3, -2
	v_add_f32_e32 v28, 1.0, v24
	s_cmp_lg_u32 s3, 0
	v_add_u32_e32 v30, -1, v29
	v_add_u32_e32 v31, 1, v29
	v_fma_f32 v32, -v30, v29, v27
	v_fma_f32 v33, -v31, v29, v27
	v_cmp_ge_f32_e64 s[0:1], 0, v32
	v_cndmask_b32_e64 v29, v29, v30, s[0:1]
	v_cmp_lt_f32_e64 s[0:1], 0, v33
	v_cndmask_b32_e64 v29, v29, v31, s[0:1]
	v_mul_f32_e32 v30, 0x37800000, v29
	v_cndmask_b32_e32 v29, v29, v30, vcc
	v_cmp_class_f32_e32 vcc, v27, v25
	v_cndmask_b32_e32 v27, v29, v27, vcc
	v_cmp_nge_f32_e32 vcc, 1.0, v27
	v_cndmask_b32_e32 v24, v28, v24, vcc
	s_cbranch_scc1 .LBB29_297
; %bb.298:
	v_add_u32_e32 v25, 0x7f8d6896, v5
	v_lshrrev_b32_e32 v26, 19, v25
	v_xor_b32_e32 v25, v25, v26
	v_xor_b32_e32 v25, 0xc761c23c, v25
	v_lshl_add_u32 v25, v25, 5, v25
	v_mov_b32_e32 v27, 0xaccf6200
	v_add_u32_e32 v26, 0xe9f8cc1d, v25
	v_lshl_add_u32 v25, v25, 9, v27
	v_xor_b32_e32 v25, v26, v25
	v_lshlrev_b32_e32 v26, 3, v25
	s_mov_b32 s0, 0xfd7046c5
	v_add3_u32 v25, v25, v26, s0
	v_xor_b32_sdwa v25, v25, v25 dst_sel:DWORD dst_unused:UNUSED_PAD src0_sel:DWORD src1_sel:WORD_1
	v_xor_b32_e32 v25, 0xb55a4f09, v25
	v_mul_hi_u32 v26, v25, 3
	v_sub_u32_e32 v27, v25, v26
	v_lshrrev_b32_e32 v27, 1, v27
	v_add_u32_e32 v26, v27, v26
	v_lshrrev_b32_e32 v26, 30, v26
	s_brev_b32 s0, -2
	v_mul_lo_u32 v26, v26, s0
	v_sub_u32_e32 v25, v25, v26
	v_max_u32_e32 v27, 1, v25
	s_movk_i32 s3, 0x2710
	v_mov_b32_e32 v25, 0
	s_mov_b32 s4, 0xbc8f1391
	s_mov_b32 s5, 0xbc8f
	s_brev_b32 s8, 12
	s_mov_b32 s9, 0xf800000
	v_mov_b32_e32 v26, 0x260
.LBB29_299:                             ; =>This Inner Loop Header: Depth=1
	v_mul_hi_u32 v28, v27, s4
	v_lshrrev_b32_e32 v28, 15, v28
	v_mul_u32_u24_e32 v30, 0xadc8, v28
	v_sub_u32_e32 v27, v27, v30
	v_mul_u32_u24_e32 v28, 0xd47, v28
	v_mul_lo_u32 v27, v27, s5
	v_xor_b32_e32 v30, 0x7fffffff, v28
	v_sub_u32_e32 v31, 0, v28
	v_cmp_lt_u32_e32 vcc, v27, v28
	v_cndmask_b32_e32 v28, v31, v30, vcc
	v_add_u32_e32 v27, v28, v27
	v_mul_hi_u32 v30, v27, s4
	v_lshrrev_b32_e32 v30, 15, v30
	v_mul_u32_u24_e32 v31, 0xadc8, v30
	v_add_u32_e32 v28, -1, v27
	v_sub_u32_e32 v27, v27, v31
	v_mul_u32_u24_e32 v30, 0xd47, v30
	v_mul_lo_u32 v27, v27, s5
	v_xor_b32_e32 v31, 0x7fffffff, v30
	v_sub_u32_e32 v32, 0, v30
	v_cmp_lt_u32_e32 vcc, v27, v30
	v_cndmask_b32_e32 v30, v32, v31, vcc
	v_add_u32_e32 v27, v30, v27
	v_mul_hi_u32 v31, v27, s4
	v_add_u32_e32 v30, -1, v27
	v_lshrrev_b32_e32 v31, 15, v31
	v_cvt_f32_u32_e32 v30, v30
	v_mul_u32_u24_e32 v32, 0xadc8, v31
	v_cvt_f32_u32_e32 v28, v28
	v_sub_u32_e32 v27, v27, v32
	v_mul_u32_u24_e32 v31, 0xd47, v31
	v_mul_lo_u32 v27, v27, s5
	v_xor_b32_e32 v32, 0x7fffffff, v31
	v_sub_u32_e32 v33, 0, v31
	v_cmp_lt_u32_e32 vcc, v27, v31
	v_fma_f32 v30, v30, s8, 0
	v_cndmask_b32_e32 v31, v33, v32, vcc
	v_fma_f32 v28, v28, s8, 0
	v_mul_f32_e32 v30, v30, v30
	v_add_u32_e32 v27, v31, v27
	v_fmac_f32_e32 v30, v28, v28
	v_mul_hi_u32 v31, v27, s4
	v_mul_f32_e32 v32, 0x4f800000, v30
	v_lshrrev_b32_e32 v31, 15, v31
	v_cmp_gt_f32_e32 vcc, s9, v30
	v_cndmask_b32_e32 v30, v30, v32, vcc
	v_mul_u32_u24_e32 v32, 0xadc8, v31
	v_add_u32_e32 v28, -1, v27
	v_sqrt_f32_e32 v33, v30
	v_sub_u32_e32 v27, v27, v32
	v_mul_u32_u24_e32 v31, 0xd47, v31
	v_mul_lo_u32 v27, v27, s5
	v_xor_b32_e32 v32, 0x7fffffff, v31
	v_sub_u32_e32 v34, 0, v31
	v_cmp_lt_u32_e64 s[0:1], v27, v31
	v_cndmask_b32_e64 v31, v34, v32, s[0:1]
	v_add_u32_e32 v27, v31, v27
	v_add_u32_e32 v31, -1, v33
	v_add_u32_e32 v32, 1, v33
	v_add_u32_e32 v34, -1, v27
	v_fma_f32 v35, -v31, v33, v30
	v_fma_f32 v36, -v32, v33, v30
	v_cvt_f32_u32_e32 v34, v34
	v_cmp_ge_f32_e64 s[0:1], 0, v35
	v_cvt_f32_u32_e32 v28, v28
	v_cndmask_b32_e64 v31, v33, v31, s[0:1]
	v_cmp_lt_f32_e64 s[0:1], 0, v36
	v_cndmask_b32_e64 v31, v31, v32, s[0:1]
	v_mul_f32_e32 v32, 0x37800000, v31
	v_cndmask_b32_e32 v31, v31, v32, vcc
	v_fma_f32 v32, v34, s8, 0
	v_cmp_class_f32_e32 vcc, v30, v26
	v_fma_f32 v28, v28, s8, 0
	v_cndmask_b32_e32 v30, v31, v30, vcc
	v_mul_f32_e32 v31, v32, v32
	v_add_f32_e32 v29, 1.0, v25
	v_cmp_nge_f32_e32 vcc, 1.0, v30
	v_fmac_f32_e32 v31, v28, v28
	v_cndmask_b32_e32 v25, v29, v25, vcc
	v_mul_f32_e32 v28, 0x4f800000, v31
	v_cmp_gt_f32_e32 vcc, s9, v31
	v_cndmask_b32_e32 v28, v31, v28, vcc
	v_sqrt_f32_e32 v30, v28
	s_add_i32 s3, s3, -2
	v_add_f32_e32 v29, 1.0, v25
	s_cmp_lg_u32 s3, 0
	v_add_u32_e32 v31, -1, v30
	v_add_u32_e32 v32, 1, v30
	v_fma_f32 v33, -v31, v30, v28
	v_fma_f32 v34, -v32, v30, v28
	v_cmp_ge_f32_e64 s[0:1], 0, v33
	v_cndmask_b32_e64 v30, v30, v31, s[0:1]
	v_cmp_lt_f32_e64 s[0:1], 0, v34
	v_cndmask_b32_e64 v30, v30, v32, s[0:1]
	v_mul_f32_e32 v31, 0x37800000, v30
	v_cndmask_b32_e32 v30, v30, v31, vcc
	v_cmp_class_f32_e32 vcc, v28, v26
	v_cndmask_b32_e32 v28, v30, v28, vcc
	v_cmp_nge_f32_e32 vcc, 1.0, v28
	v_cndmask_b32_e32 v25, v29, v25, vcc
	s_cbranch_scc1 .LBB29_299
; %bb.300:
	v_add_u32_e32 v26, 0x7f956916, v5
	v_lshrrev_b32_e32 v27, 19, v26
	v_xor_b32_e32 v26, v26, v27
	v_xor_b32_e32 v26, 0xc761c23c, v26
	v_lshl_add_u32 v26, v26, 5, v26
	v_mov_b32_e32 v28, 0xaccf6200
	v_add_u32_e32 v27, 0xe9f8cc1d, v26
	v_lshl_add_u32 v26, v26, 9, v28
	v_xor_b32_e32 v26, v27, v26
	v_lshlrev_b32_e32 v27, 3, v26
	s_mov_b32 s0, 0xfd7046c5
	v_add3_u32 v26, v26, v27, s0
	v_xor_b32_sdwa v26, v26, v26 dst_sel:DWORD dst_unused:UNUSED_PAD src0_sel:DWORD src1_sel:WORD_1
	v_xor_b32_e32 v26, 0xb55a4f09, v26
	v_mul_hi_u32 v27, v26, 3
	v_sub_u32_e32 v28, v26, v27
	v_lshrrev_b32_e32 v28, 1, v28
	v_add_u32_e32 v27, v28, v27
	v_lshrrev_b32_e32 v27, 30, v27
	s_brev_b32 s0, -2
	v_mul_lo_u32 v27, v27, s0
	v_sub_u32_e32 v26, v26, v27
	v_max_u32_e32 v28, 1, v26
	s_movk_i32 s3, 0x2710
	v_mov_b32_e32 v26, 0
	s_mov_b32 s4, 0xbc8f1391
	s_mov_b32 s5, 0xbc8f
	s_brev_b32 s8, 12
	s_mov_b32 s9, 0xf800000
	v_mov_b32_e32 v27, 0x260
.LBB29_301:                             ; =>This Inner Loop Header: Depth=1
	v_mul_hi_u32 v29, v28, s4
	v_lshrrev_b32_e32 v29, 15, v29
	v_mul_u32_u24_e32 v31, 0xadc8, v29
	v_sub_u32_e32 v28, v28, v31
	v_mul_u32_u24_e32 v29, 0xd47, v29
	v_mul_lo_u32 v28, v28, s5
	v_xor_b32_e32 v31, 0x7fffffff, v29
	v_sub_u32_e32 v32, 0, v29
	v_cmp_lt_u32_e32 vcc, v28, v29
	v_cndmask_b32_e32 v29, v32, v31, vcc
	v_add_u32_e32 v28, v29, v28
	v_mul_hi_u32 v31, v28, s4
	v_lshrrev_b32_e32 v31, 15, v31
	v_mul_u32_u24_e32 v32, 0xadc8, v31
	v_add_u32_e32 v29, -1, v28
	v_sub_u32_e32 v28, v28, v32
	v_mul_u32_u24_e32 v31, 0xd47, v31
	v_mul_lo_u32 v28, v28, s5
	v_xor_b32_e32 v32, 0x7fffffff, v31
	v_sub_u32_e32 v33, 0, v31
	v_cmp_lt_u32_e32 vcc, v28, v31
	v_cndmask_b32_e32 v31, v33, v32, vcc
	v_add_u32_e32 v28, v31, v28
	v_mul_hi_u32 v32, v28, s4
	v_add_u32_e32 v31, -1, v28
	v_lshrrev_b32_e32 v32, 15, v32
	v_cvt_f32_u32_e32 v31, v31
	v_mul_u32_u24_e32 v33, 0xadc8, v32
	v_cvt_f32_u32_e32 v29, v29
	v_sub_u32_e32 v28, v28, v33
	v_mul_u32_u24_e32 v32, 0xd47, v32
	v_mul_lo_u32 v28, v28, s5
	v_xor_b32_e32 v33, 0x7fffffff, v32
	v_sub_u32_e32 v34, 0, v32
	v_cmp_lt_u32_e32 vcc, v28, v32
	v_fma_f32 v31, v31, s8, 0
	v_cndmask_b32_e32 v32, v34, v33, vcc
	v_fma_f32 v29, v29, s8, 0
	v_mul_f32_e32 v31, v31, v31
	v_add_u32_e32 v28, v32, v28
	v_fmac_f32_e32 v31, v29, v29
	v_mul_hi_u32 v32, v28, s4
	v_mul_f32_e32 v33, 0x4f800000, v31
	v_lshrrev_b32_e32 v32, 15, v32
	v_cmp_gt_f32_e32 vcc, s9, v31
	v_cndmask_b32_e32 v31, v31, v33, vcc
	v_mul_u32_u24_e32 v33, 0xadc8, v32
	v_add_u32_e32 v29, -1, v28
	v_sqrt_f32_e32 v34, v31
	v_sub_u32_e32 v28, v28, v33
	v_mul_u32_u24_e32 v32, 0xd47, v32
	v_mul_lo_u32 v28, v28, s5
	v_xor_b32_e32 v33, 0x7fffffff, v32
	v_sub_u32_e32 v35, 0, v32
	v_cmp_lt_u32_e64 s[0:1], v28, v32
	v_cndmask_b32_e64 v32, v35, v33, s[0:1]
	v_add_u32_e32 v28, v32, v28
	v_add_u32_e32 v32, -1, v34
	v_add_u32_e32 v33, 1, v34
	v_add_u32_e32 v35, -1, v28
	v_fma_f32 v36, -v32, v34, v31
	v_fma_f32 v37, -v33, v34, v31
	v_cvt_f32_u32_e32 v35, v35
	v_cmp_ge_f32_e64 s[0:1], 0, v36
	v_cvt_f32_u32_e32 v29, v29
	v_cndmask_b32_e64 v32, v34, v32, s[0:1]
	v_cmp_lt_f32_e64 s[0:1], 0, v37
	v_cndmask_b32_e64 v32, v32, v33, s[0:1]
	v_mul_f32_e32 v33, 0x37800000, v32
	v_cndmask_b32_e32 v32, v32, v33, vcc
	v_fma_f32 v33, v35, s8, 0
	v_cmp_class_f32_e32 vcc, v31, v27
	v_fma_f32 v29, v29, s8, 0
	v_cndmask_b32_e32 v31, v32, v31, vcc
	v_mul_f32_e32 v32, v33, v33
	v_add_f32_e32 v30, 1.0, v26
	v_cmp_nge_f32_e32 vcc, 1.0, v31
	v_fmac_f32_e32 v32, v29, v29
	v_cndmask_b32_e32 v26, v30, v26, vcc
	v_mul_f32_e32 v29, 0x4f800000, v32
	v_cmp_gt_f32_e32 vcc, s9, v32
	v_cndmask_b32_e32 v29, v32, v29, vcc
	v_sqrt_f32_e32 v31, v29
	s_add_i32 s3, s3, -2
	v_add_f32_e32 v30, 1.0, v26
	s_cmp_lg_u32 s3, 0
	v_add_u32_e32 v32, -1, v31
	v_add_u32_e32 v33, 1, v31
	v_fma_f32 v34, -v32, v31, v29
	v_fma_f32 v35, -v33, v31, v29
	v_cmp_ge_f32_e64 s[0:1], 0, v34
	v_cndmask_b32_e64 v31, v31, v32, s[0:1]
	v_cmp_lt_f32_e64 s[0:1], 0, v35
	v_cndmask_b32_e64 v31, v31, v33, s[0:1]
	v_mul_f32_e32 v32, 0x37800000, v31
	v_cndmask_b32_e32 v31, v31, v32, vcc
	v_cmp_class_f32_e32 vcc, v29, v27
	v_cndmask_b32_e32 v29, v31, v29, vcc
	v_cmp_nge_f32_e32 vcc, 1.0, v29
	v_cndmask_b32_e32 v26, v30, v26, vcc
	s_cbranch_scc1 .LBB29_301
; %bb.302:
	v_add_u32_e32 v27, 0x7f9d6996, v5
	v_lshrrev_b32_e32 v28, 19, v27
	v_xor_b32_e32 v27, v27, v28
	v_xor_b32_e32 v27, 0xc761c23c, v27
	v_lshl_add_u32 v27, v27, 5, v27
	v_mov_b32_e32 v29, 0xaccf6200
	v_add_u32_e32 v28, 0xe9f8cc1d, v27
	v_lshl_add_u32 v27, v27, 9, v29
	v_xor_b32_e32 v27, v28, v27
	v_lshlrev_b32_e32 v28, 3, v27
	s_mov_b32 s0, 0xfd7046c5
	v_add3_u32 v27, v27, v28, s0
	v_xor_b32_sdwa v27, v27, v27 dst_sel:DWORD dst_unused:UNUSED_PAD src0_sel:DWORD src1_sel:WORD_1
	v_xor_b32_e32 v27, 0xb55a4f09, v27
	v_mul_hi_u32 v28, v27, 3
	v_sub_u32_e32 v29, v27, v28
	v_lshrrev_b32_e32 v29, 1, v29
	v_add_u32_e32 v28, v29, v28
	v_lshrrev_b32_e32 v28, 30, v28
	s_brev_b32 s0, -2
	v_mul_lo_u32 v28, v28, s0
	v_sub_u32_e32 v27, v27, v28
	v_max_u32_e32 v29, 1, v27
	s_movk_i32 s3, 0x2710
	v_mov_b32_e32 v27, 0
	s_mov_b32 s4, 0xbc8f1391
	s_mov_b32 s5, 0xbc8f
	s_brev_b32 s8, 12
	s_mov_b32 s9, 0xf800000
	v_mov_b32_e32 v28, 0x260
.LBB29_303:                             ; =>This Inner Loop Header: Depth=1
	v_mul_hi_u32 v30, v29, s4
	v_lshrrev_b32_e32 v30, 15, v30
	v_mul_u32_u24_e32 v32, 0xadc8, v30
	v_sub_u32_e32 v29, v29, v32
	v_mul_u32_u24_e32 v30, 0xd47, v30
	v_mul_lo_u32 v29, v29, s5
	v_xor_b32_e32 v32, 0x7fffffff, v30
	v_sub_u32_e32 v33, 0, v30
	v_cmp_lt_u32_e32 vcc, v29, v30
	v_cndmask_b32_e32 v30, v33, v32, vcc
	v_add_u32_e32 v29, v30, v29
	v_mul_hi_u32 v32, v29, s4
	v_lshrrev_b32_e32 v32, 15, v32
	v_mul_u32_u24_e32 v33, 0xadc8, v32
	v_add_u32_e32 v30, -1, v29
	v_sub_u32_e32 v29, v29, v33
	v_mul_u32_u24_e32 v32, 0xd47, v32
	v_mul_lo_u32 v29, v29, s5
	v_xor_b32_e32 v33, 0x7fffffff, v32
	v_sub_u32_e32 v34, 0, v32
	v_cmp_lt_u32_e32 vcc, v29, v32
	v_cndmask_b32_e32 v32, v34, v33, vcc
	v_add_u32_e32 v29, v32, v29
	v_mul_hi_u32 v33, v29, s4
	v_add_u32_e32 v32, -1, v29
	v_lshrrev_b32_e32 v33, 15, v33
	v_cvt_f32_u32_e32 v32, v32
	v_mul_u32_u24_e32 v34, 0xadc8, v33
	v_cvt_f32_u32_e32 v30, v30
	v_sub_u32_e32 v29, v29, v34
	v_mul_u32_u24_e32 v33, 0xd47, v33
	v_mul_lo_u32 v29, v29, s5
	v_xor_b32_e32 v34, 0x7fffffff, v33
	v_sub_u32_e32 v35, 0, v33
	v_cmp_lt_u32_e32 vcc, v29, v33
	v_fma_f32 v32, v32, s8, 0
	v_cndmask_b32_e32 v33, v35, v34, vcc
	v_fma_f32 v30, v30, s8, 0
	v_mul_f32_e32 v32, v32, v32
	v_add_u32_e32 v29, v33, v29
	v_fmac_f32_e32 v32, v30, v30
	v_mul_hi_u32 v33, v29, s4
	v_mul_f32_e32 v34, 0x4f800000, v32
	v_lshrrev_b32_e32 v33, 15, v33
	v_cmp_gt_f32_e32 vcc, s9, v32
	v_cndmask_b32_e32 v32, v32, v34, vcc
	v_mul_u32_u24_e32 v34, 0xadc8, v33
	v_add_u32_e32 v30, -1, v29
	v_sqrt_f32_e32 v35, v32
	v_sub_u32_e32 v29, v29, v34
	v_mul_u32_u24_e32 v33, 0xd47, v33
	v_mul_lo_u32 v29, v29, s5
	v_xor_b32_e32 v34, 0x7fffffff, v33
	v_sub_u32_e32 v36, 0, v33
	v_cmp_lt_u32_e64 s[0:1], v29, v33
	v_cndmask_b32_e64 v33, v36, v34, s[0:1]
	v_add_u32_e32 v29, v33, v29
	v_add_u32_e32 v33, -1, v35
	v_add_u32_e32 v34, 1, v35
	v_add_u32_e32 v36, -1, v29
	v_fma_f32 v37, -v33, v35, v32
	v_fma_f32 v38, -v34, v35, v32
	v_cvt_f32_u32_e32 v36, v36
	v_cmp_ge_f32_e64 s[0:1], 0, v37
	v_cvt_f32_u32_e32 v30, v30
	v_cndmask_b32_e64 v33, v35, v33, s[0:1]
	v_cmp_lt_f32_e64 s[0:1], 0, v38
	v_cndmask_b32_e64 v33, v33, v34, s[0:1]
	v_mul_f32_e32 v34, 0x37800000, v33
	v_cndmask_b32_e32 v33, v33, v34, vcc
	v_fma_f32 v34, v36, s8, 0
	v_cmp_class_f32_e32 vcc, v32, v28
	v_fma_f32 v30, v30, s8, 0
	v_cndmask_b32_e32 v32, v33, v32, vcc
	v_mul_f32_e32 v33, v34, v34
	v_add_f32_e32 v31, 1.0, v27
	v_cmp_nge_f32_e32 vcc, 1.0, v32
	v_fmac_f32_e32 v33, v30, v30
	v_cndmask_b32_e32 v27, v31, v27, vcc
	v_mul_f32_e32 v30, 0x4f800000, v33
	v_cmp_gt_f32_e32 vcc, s9, v33
	v_cndmask_b32_e32 v30, v33, v30, vcc
	v_sqrt_f32_e32 v32, v30
	s_add_i32 s3, s3, -2
	v_add_f32_e32 v31, 1.0, v27
	s_cmp_lg_u32 s3, 0
	v_add_u32_e32 v33, -1, v32
	v_add_u32_e32 v34, 1, v32
	v_fma_f32 v35, -v33, v32, v30
	v_fma_f32 v36, -v34, v32, v30
	v_cmp_ge_f32_e64 s[0:1], 0, v35
	v_cndmask_b32_e64 v32, v32, v33, s[0:1]
	v_cmp_lt_f32_e64 s[0:1], 0, v36
	v_cndmask_b32_e64 v32, v32, v34, s[0:1]
	v_mul_f32_e32 v33, 0x37800000, v32
	v_cndmask_b32_e32 v32, v32, v33, vcc
	v_cmp_class_f32_e32 vcc, v30, v28
	v_cndmask_b32_e32 v30, v32, v30, vcc
	v_cmp_nge_f32_e32 vcc, 1.0, v30
	v_cndmask_b32_e32 v27, v31, v27, vcc
	s_cbranch_scc1 .LBB29_303
; %bb.304:
	v_add_u32_e32 v28, 0x7fa56a16, v5
	v_lshrrev_b32_e32 v29, 19, v28
	v_xor_b32_e32 v28, v28, v29
	v_xor_b32_e32 v28, 0xc761c23c, v28
	v_lshl_add_u32 v28, v28, 5, v28
	v_mov_b32_e32 v30, 0xaccf6200
	v_add_u32_e32 v29, 0xe9f8cc1d, v28
	v_lshl_add_u32 v28, v28, 9, v30
	v_xor_b32_e32 v28, v29, v28
	v_lshlrev_b32_e32 v29, 3, v28
	s_mov_b32 s0, 0xfd7046c5
	v_add3_u32 v28, v28, v29, s0
	v_xor_b32_sdwa v28, v28, v28 dst_sel:DWORD dst_unused:UNUSED_PAD src0_sel:DWORD src1_sel:WORD_1
	v_xor_b32_e32 v28, 0xb55a4f09, v28
	v_mul_hi_u32 v29, v28, 3
	v_sub_u32_e32 v30, v28, v29
	v_lshrrev_b32_e32 v30, 1, v30
	v_add_u32_e32 v29, v30, v29
	v_lshrrev_b32_e32 v29, 30, v29
	s_brev_b32 s0, -2
	v_mul_lo_u32 v29, v29, s0
	v_sub_u32_e32 v28, v28, v29
	v_max_u32_e32 v30, 1, v28
	s_movk_i32 s3, 0x2710
	v_mov_b32_e32 v28, 0
	s_mov_b32 s4, 0xbc8f1391
	s_mov_b32 s5, 0xbc8f
	s_brev_b32 s8, 12
	s_mov_b32 s9, 0xf800000
	v_mov_b32_e32 v29, 0x260
.LBB29_305:                             ; =>This Inner Loop Header: Depth=1
	v_mul_hi_u32 v31, v30, s4
	v_lshrrev_b32_e32 v31, 15, v31
	v_mul_u32_u24_e32 v33, 0xadc8, v31
	v_sub_u32_e32 v30, v30, v33
	v_mul_u32_u24_e32 v31, 0xd47, v31
	v_mul_lo_u32 v30, v30, s5
	v_xor_b32_e32 v33, 0x7fffffff, v31
	v_sub_u32_e32 v34, 0, v31
	v_cmp_lt_u32_e32 vcc, v30, v31
	v_cndmask_b32_e32 v31, v34, v33, vcc
	v_add_u32_e32 v30, v31, v30
	v_mul_hi_u32 v33, v30, s4
	v_lshrrev_b32_e32 v33, 15, v33
	v_mul_u32_u24_e32 v34, 0xadc8, v33
	v_add_u32_e32 v31, -1, v30
	v_sub_u32_e32 v30, v30, v34
	v_mul_u32_u24_e32 v33, 0xd47, v33
	v_mul_lo_u32 v30, v30, s5
	v_xor_b32_e32 v34, 0x7fffffff, v33
	v_sub_u32_e32 v35, 0, v33
	v_cmp_lt_u32_e32 vcc, v30, v33
	v_cndmask_b32_e32 v33, v35, v34, vcc
	v_add_u32_e32 v30, v33, v30
	v_mul_hi_u32 v34, v30, s4
	v_add_u32_e32 v33, -1, v30
	v_lshrrev_b32_e32 v34, 15, v34
	v_cvt_f32_u32_e32 v33, v33
	v_mul_u32_u24_e32 v35, 0xadc8, v34
	v_cvt_f32_u32_e32 v31, v31
	v_sub_u32_e32 v30, v30, v35
	v_mul_u32_u24_e32 v34, 0xd47, v34
	v_mul_lo_u32 v30, v30, s5
	v_xor_b32_e32 v35, 0x7fffffff, v34
	v_sub_u32_e32 v36, 0, v34
	v_cmp_lt_u32_e32 vcc, v30, v34
	v_fma_f32 v33, v33, s8, 0
	v_cndmask_b32_e32 v34, v36, v35, vcc
	v_fma_f32 v31, v31, s8, 0
	v_mul_f32_e32 v33, v33, v33
	v_add_u32_e32 v30, v34, v30
	v_fmac_f32_e32 v33, v31, v31
	v_mul_hi_u32 v34, v30, s4
	v_mul_f32_e32 v35, 0x4f800000, v33
	v_lshrrev_b32_e32 v34, 15, v34
	v_cmp_gt_f32_e32 vcc, s9, v33
	v_cndmask_b32_e32 v33, v33, v35, vcc
	v_mul_u32_u24_e32 v35, 0xadc8, v34
	v_add_u32_e32 v31, -1, v30
	v_sqrt_f32_e32 v36, v33
	v_sub_u32_e32 v30, v30, v35
	v_mul_u32_u24_e32 v34, 0xd47, v34
	v_mul_lo_u32 v30, v30, s5
	v_xor_b32_e32 v35, 0x7fffffff, v34
	v_sub_u32_e32 v37, 0, v34
	v_cmp_lt_u32_e64 s[0:1], v30, v34
	v_cndmask_b32_e64 v34, v37, v35, s[0:1]
	v_add_u32_e32 v30, v34, v30
	v_add_u32_e32 v34, -1, v36
	v_add_u32_e32 v35, 1, v36
	v_add_u32_e32 v37, -1, v30
	v_fma_f32 v38, -v34, v36, v33
	v_fma_f32 v39, -v35, v36, v33
	v_cvt_f32_u32_e32 v37, v37
	v_cmp_ge_f32_e64 s[0:1], 0, v38
	v_cvt_f32_u32_e32 v31, v31
	v_cndmask_b32_e64 v34, v36, v34, s[0:1]
	v_cmp_lt_f32_e64 s[0:1], 0, v39
	v_cndmask_b32_e64 v34, v34, v35, s[0:1]
	v_mul_f32_e32 v35, 0x37800000, v34
	v_cndmask_b32_e32 v34, v34, v35, vcc
	v_fma_f32 v35, v37, s8, 0
	v_cmp_class_f32_e32 vcc, v33, v29
	v_fma_f32 v31, v31, s8, 0
	v_cndmask_b32_e32 v33, v34, v33, vcc
	v_mul_f32_e32 v34, v35, v35
	v_add_f32_e32 v32, 1.0, v28
	v_cmp_nge_f32_e32 vcc, 1.0, v33
	v_fmac_f32_e32 v34, v31, v31
	v_cndmask_b32_e32 v28, v32, v28, vcc
	v_mul_f32_e32 v31, 0x4f800000, v34
	v_cmp_gt_f32_e32 vcc, s9, v34
	v_cndmask_b32_e32 v31, v34, v31, vcc
	v_sqrt_f32_e32 v33, v31
	s_add_i32 s3, s3, -2
	v_add_f32_e32 v32, 1.0, v28
	s_cmp_lg_u32 s3, 0
	v_add_u32_e32 v34, -1, v33
	v_add_u32_e32 v35, 1, v33
	v_fma_f32 v36, -v34, v33, v31
	v_fma_f32 v37, -v35, v33, v31
	v_cmp_ge_f32_e64 s[0:1], 0, v36
	v_cndmask_b32_e64 v33, v33, v34, s[0:1]
	v_cmp_lt_f32_e64 s[0:1], 0, v37
	v_cndmask_b32_e64 v33, v33, v35, s[0:1]
	v_mul_f32_e32 v34, 0x37800000, v33
	v_cndmask_b32_e32 v33, v33, v34, vcc
	v_cmp_class_f32_e32 vcc, v31, v29
	v_cndmask_b32_e32 v31, v33, v31, vcc
	v_cmp_nge_f32_e32 vcc, 1.0, v31
	v_cndmask_b32_e32 v28, v32, v28, vcc
	s_cbranch_scc1 .LBB29_305
; %bb.306:
	v_add_u32_e32 v29, 0x7fad6a96, v5
	v_lshrrev_b32_e32 v30, 19, v29
	v_xor_b32_e32 v29, v29, v30
	v_xor_b32_e32 v29, 0xc761c23c, v29
	v_lshl_add_u32 v29, v29, 5, v29
	v_mov_b32_e32 v31, 0xaccf6200
	v_add_u32_e32 v30, 0xe9f8cc1d, v29
	v_lshl_add_u32 v29, v29, 9, v31
	v_xor_b32_e32 v29, v30, v29
	v_lshlrev_b32_e32 v30, 3, v29
	s_mov_b32 s0, 0xfd7046c5
	v_add3_u32 v29, v29, v30, s0
	v_xor_b32_sdwa v29, v29, v29 dst_sel:DWORD dst_unused:UNUSED_PAD src0_sel:DWORD src1_sel:WORD_1
	v_xor_b32_e32 v29, 0xb55a4f09, v29
	v_mul_hi_u32 v30, v29, 3
	v_sub_u32_e32 v31, v29, v30
	v_lshrrev_b32_e32 v31, 1, v31
	v_add_u32_e32 v30, v31, v30
	v_lshrrev_b32_e32 v30, 30, v30
	s_brev_b32 s0, -2
	v_mul_lo_u32 v30, v30, s0
	v_sub_u32_e32 v29, v29, v30
	v_max_u32_e32 v31, 1, v29
	s_movk_i32 s3, 0x2710
	v_mov_b32_e32 v29, 0
	s_mov_b32 s4, 0xbc8f1391
	s_mov_b32 s5, 0xbc8f
	s_brev_b32 s8, 12
	s_mov_b32 s9, 0xf800000
	v_mov_b32_e32 v30, 0x260
.LBB29_307:                             ; =>This Inner Loop Header: Depth=1
	v_mul_hi_u32 v32, v31, s4
	v_lshrrev_b32_e32 v32, 15, v32
	v_mul_u32_u24_e32 v34, 0xadc8, v32
	v_sub_u32_e32 v31, v31, v34
	v_mul_u32_u24_e32 v32, 0xd47, v32
	v_mul_lo_u32 v31, v31, s5
	v_xor_b32_e32 v34, 0x7fffffff, v32
	v_sub_u32_e32 v35, 0, v32
	v_cmp_lt_u32_e32 vcc, v31, v32
	v_cndmask_b32_e32 v32, v35, v34, vcc
	v_add_u32_e32 v31, v32, v31
	v_mul_hi_u32 v34, v31, s4
	v_lshrrev_b32_e32 v34, 15, v34
	v_mul_u32_u24_e32 v35, 0xadc8, v34
	v_add_u32_e32 v32, -1, v31
	v_sub_u32_e32 v31, v31, v35
	v_mul_u32_u24_e32 v34, 0xd47, v34
	v_mul_lo_u32 v31, v31, s5
	v_xor_b32_e32 v35, 0x7fffffff, v34
	v_sub_u32_e32 v36, 0, v34
	v_cmp_lt_u32_e32 vcc, v31, v34
	v_cndmask_b32_e32 v34, v36, v35, vcc
	v_add_u32_e32 v31, v34, v31
	v_mul_hi_u32 v35, v31, s4
	v_add_u32_e32 v34, -1, v31
	v_lshrrev_b32_e32 v35, 15, v35
	v_cvt_f32_u32_e32 v34, v34
	v_mul_u32_u24_e32 v36, 0xadc8, v35
	v_cvt_f32_u32_e32 v32, v32
	v_sub_u32_e32 v31, v31, v36
	v_mul_u32_u24_e32 v35, 0xd47, v35
	v_mul_lo_u32 v31, v31, s5
	v_xor_b32_e32 v36, 0x7fffffff, v35
	v_sub_u32_e32 v37, 0, v35
	v_cmp_lt_u32_e32 vcc, v31, v35
	v_fma_f32 v34, v34, s8, 0
	v_cndmask_b32_e32 v35, v37, v36, vcc
	v_fma_f32 v32, v32, s8, 0
	v_mul_f32_e32 v34, v34, v34
	v_add_u32_e32 v31, v35, v31
	v_fmac_f32_e32 v34, v32, v32
	v_mul_hi_u32 v35, v31, s4
	v_mul_f32_e32 v36, 0x4f800000, v34
	v_lshrrev_b32_e32 v35, 15, v35
	v_cmp_gt_f32_e32 vcc, s9, v34
	v_cndmask_b32_e32 v34, v34, v36, vcc
	v_mul_u32_u24_e32 v36, 0xadc8, v35
	v_add_u32_e32 v32, -1, v31
	v_sqrt_f32_e32 v37, v34
	v_sub_u32_e32 v31, v31, v36
	v_mul_u32_u24_e32 v35, 0xd47, v35
	v_mul_lo_u32 v31, v31, s5
	v_xor_b32_e32 v36, 0x7fffffff, v35
	v_sub_u32_e32 v38, 0, v35
	v_cmp_lt_u32_e64 s[0:1], v31, v35
	v_cndmask_b32_e64 v35, v38, v36, s[0:1]
	v_add_u32_e32 v31, v35, v31
	v_add_u32_e32 v35, -1, v37
	v_add_u32_e32 v36, 1, v37
	v_add_u32_e32 v38, -1, v31
	v_fma_f32 v39, -v35, v37, v34
	v_fma_f32 v40, -v36, v37, v34
	v_cvt_f32_u32_e32 v38, v38
	v_cmp_ge_f32_e64 s[0:1], 0, v39
	v_cvt_f32_u32_e32 v32, v32
	v_cndmask_b32_e64 v35, v37, v35, s[0:1]
	v_cmp_lt_f32_e64 s[0:1], 0, v40
	v_cndmask_b32_e64 v35, v35, v36, s[0:1]
	v_mul_f32_e32 v36, 0x37800000, v35
	v_cndmask_b32_e32 v35, v35, v36, vcc
	v_fma_f32 v36, v38, s8, 0
	v_cmp_class_f32_e32 vcc, v34, v30
	v_fma_f32 v32, v32, s8, 0
	v_cndmask_b32_e32 v34, v35, v34, vcc
	v_mul_f32_e32 v35, v36, v36
	v_add_f32_e32 v33, 1.0, v29
	v_cmp_nge_f32_e32 vcc, 1.0, v34
	v_fmac_f32_e32 v35, v32, v32
	v_cndmask_b32_e32 v29, v33, v29, vcc
	v_mul_f32_e32 v32, 0x4f800000, v35
	v_cmp_gt_f32_e32 vcc, s9, v35
	v_cndmask_b32_e32 v32, v35, v32, vcc
	v_sqrt_f32_e32 v34, v32
	s_add_i32 s3, s3, -2
	v_add_f32_e32 v33, 1.0, v29
	s_cmp_lg_u32 s3, 0
	v_add_u32_e32 v35, -1, v34
	v_add_u32_e32 v36, 1, v34
	v_fma_f32 v37, -v35, v34, v32
	v_fma_f32 v38, -v36, v34, v32
	v_cmp_ge_f32_e64 s[0:1], 0, v37
	v_cndmask_b32_e64 v34, v34, v35, s[0:1]
	v_cmp_lt_f32_e64 s[0:1], 0, v38
	v_cndmask_b32_e64 v34, v34, v36, s[0:1]
	v_mul_f32_e32 v35, 0x37800000, v34
	v_cndmask_b32_e32 v34, v34, v35, vcc
	v_cmp_class_f32_e32 vcc, v32, v30
	v_cndmask_b32_e32 v32, v34, v32, vcc
	v_cmp_nge_f32_e32 vcc, 1.0, v32
	v_cndmask_b32_e32 v29, v33, v29, vcc
	s_cbranch_scc1 .LBB29_307
; %bb.308:
	v_add_u32_e32 v30, 0x7fb56b16, v5
	v_lshrrev_b32_e32 v31, 19, v30
	v_xor_b32_e32 v30, v30, v31
	v_xor_b32_e32 v30, 0xc761c23c, v30
	v_lshl_add_u32 v30, v30, 5, v30
	v_mov_b32_e32 v32, 0xaccf6200
	v_add_u32_e32 v31, 0xe9f8cc1d, v30
	v_lshl_add_u32 v30, v30, 9, v32
	v_xor_b32_e32 v30, v31, v30
	v_lshlrev_b32_e32 v31, 3, v30
	s_mov_b32 s0, 0xfd7046c5
	v_add3_u32 v30, v30, v31, s0
	v_xor_b32_sdwa v30, v30, v30 dst_sel:DWORD dst_unused:UNUSED_PAD src0_sel:DWORD src1_sel:WORD_1
	v_xor_b32_e32 v30, 0xb55a4f09, v30
	v_mul_hi_u32 v31, v30, 3
	v_sub_u32_e32 v32, v30, v31
	v_lshrrev_b32_e32 v32, 1, v32
	v_add_u32_e32 v31, v32, v31
	v_lshrrev_b32_e32 v31, 30, v31
	s_brev_b32 s0, -2
	v_mul_lo_u32 v31, v31, s0
	v_sub_u32_e32 v30, v30, v31
	v_max_u32_e32 v31, 1, v30
	s_movk_i32 s3, 0x2710
	v_mov_b32_e32 v32, 0
	s_mov_b32 s4, 0xbc8f1391
	s_mov_b32 s5, 0xbc8f
	s_brev_b32 s8, 12
	s_mov_b32 s9, 0xf800000
	v_mov_b32_e32 v30, 0x260
.LBB29_309:                             ; =>This Inner Loop Header: Depth=1
	v_mul_hi_u32 v33, v31, s4
	v_lshrrev_b32_e32 v33, 15, v33
	v_mul_u32_u24_e32 v35, 0xadc8, v33
	v_sub_u32_e32 v31, v31, v35
	v_mul_u32_u24_e32 v33, 0xd47, v33
	v_mul_lo_u32 v31, v31, s5
	v_xor_b32_e32 v35, 0x7fffffff, v33
	v_sub_u32_e32 v36, 0, v33
	v_cmp_lt_u32_e32 vcc, v31, v33
	v_cndmask_b32_e32 v33, v36, v35, vcc
	v_add_u32_e32 v31, v33, v31
	v_mul_hi_u32 v35, v31, s4
	v_lshrrev_b32_e32 v35, 15, v35
	v_mul_u32_u24_e32 v36, 0xadc8, v35
	v_add_u32_e32 v33, -1, v31
	v_sub_u32_e32 v31, v31, v36
	v_mul_u32_u24_e32 v35, 0xd47, v35
	v_mul_lo_u32 v31, v31, s5
	v_xor_b32_e32 v36, 0x7fffffff, v35
	v_sub_u32_e32 v37, 0, v35
	v_cmp_lt_u32_e32 vcc, v31, v35
	v_cndmask_b32_e32 v35, v37, v36, vcc
	v_add_u32_e32 v31, v35, v31
	v_mul_hi_u32 v36, v31, s4
	v_add_u32_e32 v35, -1, v31
	v_lshrrev_b32_e32 v36, 15, v36
	v_cvt_f32_u32_e32 v35, v35
	v_mul_u32_u24_e32 v37, 0xadc8, v36
	v_cvt_f32_u32_e32 v33, v33
	v_sub_u32_e32 v31, v31, v37
	v_mul_u32_u24_e32 v36, 0xd47, v36
	v_mul_lo_u32 v31, v31, s5
	v_xor_b32_e32 v37, 0x7fffffff, v36
	v_sub_u32_e32 v38, 0, v36
	v_cmp_lt_u32_e32 vcc, v31, v36
	v_fma_f32 v35, v35, s8, 0
	v_cndmask_b32_e32 v36, v38, v37, vcc
	v_fma_f32 v33, v33, s8, 0
	v_mul_f32_e32 v35, v35, v35
	v_add_u32_e32 v31, v36, v31
	v_fmac_f32_e32 v35, v33, v33
	v_mul_hi_u32 v36, v31, s4
	v_mul_f32_e32 v37, 0x4f800000, v35
	v_lshrrev_b32_e32 v36, 15, v36
	v_cmp_gt_f32_e32 vcc, s9, v35
	v_cndmask_b32_e32 v35, v35, v37, vcc
	v_mul_u32_u24_e32 v37, 0xadc8, v36
	v_add_u32_e32 v33, -1, v31
	v_sqrt_f32_e32 v38, v35
	v_sub_u32_e32 v31, v31, v37
	v_mul_u32_u24_e32 v36, 0xd47, v36
	v_mul_lo_u32 v31, v31, s5
	v_xor_b32_e32 v37, 0x7fffffff, v36
	v_sub_u32_e32 v39, 0, v36
	v_cmp_lt_u32_e64 s[0:1], v31, v36
	v_cndmask_b32_e64 v36, v39, v37, s[0:1]
	v_add_u32_e32 v31, v36, v31
	v_add_u32_e32 v36, -1, v38
	v_add_u32_e32 v37, 1, v38
	v_add_u32_e32 v39, -1, v31
	v_fma_f32 v40, -v36, v38, v35
	v_fma_f32 v41, -v37, v38, v35
	v_cvt_f32_u32_e32 v39, v39
	v_cmp_ge_f32_e64 s[0:1], 0, v40
	v_cvt_f32_u32_e32 v33, v33
	v_cndmask_b32_e64 v36, v38, v36, s[0:1]
	v_cmp_lt_f32_e64 s[0:1], 0, v41
	v_cndmask_b32_e64 v36, v36, v37, s[0:1]
	v_mul_f32_e32 v37, 0x37800000, v36
	v_cndmask_b32_e32 v36, v36, v37, vcc
	v_fma_f32 v37, v39, s8, 0
	v_cmp_class_f32_e32 vcc, v35, v30
	v_fma_f32 v33, v33, s8, 0
	v_cndmask_b32_e32 v35, v36, v35, vcc
	v_mul_f32_e32 v36, v37, v37
	v_add_f32_e32 v34, 1.0, v32
	v_cmp_nge_f32_e32 vcc, 1.0, v35
	v_fmac_f32_e32 v36, v33, v33
	v_cndmask_b32_e32 v32, v34, v32, vcc
	v_mul_f32_e32 v33, 0x4f800000, v36
	v_cmp_gt_f32_e32 vcc, s9, v36
	v_cndmask_b32_e32 v33, v36, v33, vcc
	v_sqrt_f32_e32 v35, v33
	s_add_i32 s3, s3, -2
	v_add_f32_e32 v34, 1.0, v32
	s_cmp_lg_u32 s3, 0
	v_add_u32_e32 v36, -1, v35
	v_add_u32_e32 v37, 1, v35
	v_fma_f32 v38, -v36, v35, v33
	v_fma_f32 v39, -v37, v35, v33
	v_cmp_ge_f32_e64 s[0:1], 0, v38
	v_cndmask_b32_e64 v35, v35, v36, s[0:1]
	v_cmp_lt_f32_e64 s[0:1], 0, v39
	v_cndmask_b32_e64 v35, v35, v37, s[0:1]
	v_mul_f32_e32 v36, 0x37800000, v35
	v_cndmask_b32_e32 v35, v35, v36, vcc
	v_cmp_class_f32_e32 vcc, v33, v30
	v_cndmask_b32_e32 v33, v35, v33, vcc
	v_cmp_nge_f32_e32 vcc, 1.0, v33
	v_cndmask_b32_e32 v32, v34, v32, vcc
	s_cbranch_scc1 .LBB29_309
; %bb.310:
	v_add_u32_e32 v30, 0x7fbd6b96, v5
	v_lshrrev_b32_e32 v31, 19, v30
	v_xor_b32_e32 v30, v30, v31
	v_xor_b32_e32 v30, 0xc761c23c, v30
	v_lshl_add_u32 v30, v30, 5, v30
	v_mov_b32_e32 v33, 0xaccf6200
	v_add_u32_e32 v31, 0xe9f8cc1d, v30
	v_lshl_add_u32 v30, v30, 9, v33
	v_xor_b32_e32 v30, v31, v30
	v_lshlrev_b32_e32 v31, 3, v30
	s_mov_b32 s0, 0xfd7046c5
	v_add3_u32 v30, v30, v31, s0
	v_xor_b32_sdwa v30, v30, v30 dst_sel:DWORD dst_unused:UNUSED_PAD src0_sel:DWORD src1_sel:WORD_1
	v_xor_b32_e32 v30, 0xb55a4f09, v30
	v_mul_hi_u32 v31, v30, 3
	v_sub_u32_e32 v33, v30, v31
	v_lshrrev_b32_e32 v33, 1, v33
	v_add_u32_e32 v31, v33, v31
	v_lshrrev_b32_e32 v31, 30, v31
	s_brev_b32 s0, -2
	v_mul_lo_u32 v31, v31, s0
	v_sub_u32_e32 v30, v30, v31
	v_max_u32_e32 v33, 1, v30
	s_movk_i32 s3, 0x2710
	v_mov_b32_e32 v30, 0
	s_mov_b32 s4, 0xbc8f1391
	s_mov_b32 s5, 0xbc8f
	s_brev_b32 s8, 12
	s_mov_b32 s9, 0xf800000
	v_mov_b32_e32 v31, 0x260
.LBB29_311:                             ; =>This Inner Loop Header: Depth=1
	v_mul_hi_u32 v34, v33, s4
	v_lshrrev_b32_e32 v34, 15, v34
	v_mul_u32_u24_e32 v36, 0xadc8, v34
	v_sub_u32_e32 v33, v33, v36
	v_mul_u32_u24_e32 v34, 0xd47, v34
	v_mul_lo_u32 v33, v33, s5
	v_xor_b32_e32 v36, 0x7fffffff, v34
	v_sub_u32_e32 v37, 0, v34
	v_cmp_lt_u32_e32 vcc, v33, v34
	v_cndmask_b32_e32 v34, v37, v36, vcc
	v_add_u32_e32 v33, v34, v33
	v_mul_hi_u32 v36, v33, s4
	v_lshrrev_b32_e32 v36, 15, v36
	v_mul_u32_u24_e32 v37, 0xadc8, v36
	v_add_u32_e32 v34, -1, v33
	v_sub_u32_e32 v33, v33, v37
	v_mul_u32_u24_e32 v36, 0xd47, v36
	v_mul_lo_u32 v33, v33, s5
	v_xor_b32_e32 v37, 0x7fffffff, v36
	v_sub_u32_e32 v38, 0, v36
	v_cmp_lt_u32_e32 vcc, v33, v36
	v_cndmask_b32_e32 v36, v38, v37, vcc
	v_add_u32_e32 v33, v36, v33
	v_mul_hi_u32 v37, v33, s4
	v_add_u32_e32 v36, -1, v33
	v_lshrrev_b32_e32 v37, 15, v37
	v_cvt_f32_u32_e32 v36, v36
	v_mul_u32_u24_e32 v38, 0xadc8, v37
	v_cvt_f32_u32_e32 v34, v34
	v_sub_u32_e32 v33, v33, v38
	v_mul_u32_u24_e32 v37, 0xd47, v37
	v_mul_lo_u32 v33, v33, s5
	v_xor_b32_e32 v38, 0x7fffffff, v37
	v_sub_u32_e32 v39, 0, v37
	v_cmp_lt_u32_e32 vcc, v33, v37
	v_fma_f32 v36, v36, s8, 0
	v_cndmask_b32_e32 v37, v39, v38, vcc
	v_fma_f32 v34, v34, s8, 0
	v_mul_f32_e32 v36, v36, v36
	v_add_u32_e32 v33, v37, v33
	v_fmac_f32_e32 v36, v34, v34
	v_mul_hi_u32 v37, v33, s4
	v_mul_f32_e32 v38, 0x4f800000, v36
	v_lshrrev_b32_e32 v37, 15, v37
	v_cmp_gt_f32_e32 vcc, s9, v36
	v_cndmask_b32_e32 v36, v36, v38, vcc
	v_mul_u32_u24_e32 v38, 0xadc8, v37
	v_add_u32_e32 v34, -1, v33
	v_sqrt_f32_e32 v39, v36
	v_sub_u32_e32 v33, v33, v38
	v_mul_u32_u24_e32 v37, 0xd47, v37
	v_mul_lo_u32 v33, v33, s5
	v_xor_b32_e32 v38, 0x7fffffff, v37
	v_sub_u32_e32 v40, 0, v37
	v_cmp_lt_u32_e64 s[0:1], v33, v37
	v_cndmask_b32_e64 v37, v40, v38, s[0:1]
	v_add_u32_e32 v33, v37, v33
	v_add_u32_e32 v37, -1, v39
	v_add_u32_e32 v38, 1, v39
	v_add_u32_e32 v40, -1, v33
	v_fma_f32 v41, -v37, v39, v36
	v_fma_f32 v42, -v38, v39, v36
	v_cvt_f32_u32_e32 v40, v40
	v_cmp_ge_f32_e64 s[0:1], 0, v41
	v_cvt_f32_u32_e32 v34, v34
	v_cndmask_b32_e64 v37, v39, v37, s[0:1]
	v_cmp_lt_f32_e64 s[0:1], 0, v42
	v_cndmask_b32_e64 v37, v37, v38, s[0:1]
	v_mul_f32_e32 v38, 0x37800000, v37
	v_cndmask_b32_e32 v37, v37, v38, vcc
	v_fma_f32 v38, v40, s8, 0
	v_cmp_class_f32_e32 vcc, v36, v31
	v_fma_f32 v34, v34, s8, 0
	v_cndmask_b32_e32 v36, v37, v36, vcc
	v_mul_f32_e32 v37, v38, v38
	v_add_f32_e32 v35, 1.0, v30
	v_cmp_nge_f32_e32 vcc, 1.0, v36
	v_fmac_f32_e32 v37, v34, v34
	v_cndmask_b32_e32 v30, v35, v30, vcc
	v_mul_f32_e32 v34, 0x4f800000, v37
	v_cmp_gt_f32_e32 vcc, s9, v37
	v_cndmask_b32_e32 v34, v37, v34, vcc
	v_sqrt_f32_e32 v36, v34
	s_add_i32 s3, s3, -2
	v_add_f32_e32 v35, 1.0, v30
	s_cmp_lg_u32 s3, 0
	v_add_u32_e32 v37, -1, v36
	v_add_u32_e32 v38, 1, v36
	v_fma_f32 v39, -v37, v36, v34
	v_fma_f32 v40, -v38, v36, v34
	v_cmp_ge_f32_e64 s[0:1], 0, v39
	v_cndmask_b32_e64 v36, v36, v37, s[0:1]
	v_cmp_lt_f32_e64 s[0:1], 0, v40
	v_cndmask_b32_e64 v36, v36, v38, s[0:1]
	v_mul_f32_e32 v37, 0x37800000, v36
	v_cndmask_b32_e32 v36, v36, v37, vcc
	v_cmp_class_f32_e32 vcc, v34, v31
	v_cndmask_b32_e32 v34, v36, v34, vcc
	v_cmp_nge_f32_e32 vcc, 1.0, v34
	v_cndmask_b32_e32 v30, v35, v30, vcc
	s_cbranch_scc1 .LBB29_311
; %bb.312:
	v_add_u32_e32 v31, 0x7fc56c16, v5
	v_lshrrev_b32_e32 v33, 19, v31
	v_xor_b32_e32 v31, v31, v33
	v_xor_b32_e32 v31, 0xc761c23c, v31
	v_lshl_add_u32 v31, v31, 5, v31
	v_mov_b32_e32 v34, 0xaccf6200
	v_add_u32_e32 v33, 0xe9f8cc1d, v31
	v_lshl_add_u32 v31, v31, 9, v34
	v_xor_b32_e32 v31, v33, v31
	v_lshlrev_b32_e32 v33, 3, v31
	s_mov_b32 s0, 0xfd7046c5
	v_add3_u32 v31, v31, v33, s0
	v_xor_b32_sdwa v31, v31, v31 dst_sel:DWORD dst_unused:UNUSED_PAD src0_sel:DWORD src1_sel:WORD_1
	v_xor_b32_e32 v31, 0xb55a4f09, v31
	v_mul_hi_u32 v33, v31, 3
	v_sub_u32_e32 v34, v31, v33
	v_lshrrev_b32_e32 v34, 1, v34
	v_add_u32_e32 v33, v34, v33
	v_lshrrev_b32_e32 v33, 30, v33
	s_brev_b32 s0, -2
	v_mul_lo_u32 v33, v33, s0
	v_sub_u32_e32 v31, v31, v33
	v_max_u32_e32 v34, 1, v31
	s_movk_i32 s3, 0x2710
	v_mov_b32_e32 v31, 0
	s_mov_b32 s4, 0xbc8f1391
	s_mov_b32 s5, 0xbc8f
	s_brev_b32 s8, 12
	s_mov_b32 s9, 0xf800000
	v_mov_b32_e32 v33, 0x260
.LBB29_313:                             ; =>This Inner Loop Header: Depth=1
	v_mul_hi_u32 v35, v34, s4
	v_lshrrev_b32_e32 v35, 15, v35
	v_mul_u32_u24_e32 v37, 0xadc8, v35
	v_sub_u32_e32 v34, v34, v37
	v_mul_u32_u24_e32 v35, 0xd47, v35
	v_mul_lo_u32 v34, v34, s5
	v_xor_b32_e32 v37, 0x7fffffff, v35
	v_sub_u32_e32 v38, 0, v35
	v_cmp_lt_u32_e32 vcc, v34, v35
	v_cndmask_b32_e32 v35, v38, v37, vcc
	v_add_u32_e32 v34, v35, v34
	v_mul_hi_u32 v37, v34, s4
	v_lshrrev_b32_e32 v37, 15, v37
	v_mul_u32_u24_e32 v38, 0xadc8, v37
	v_add_u32_e32 v35, -1, v34
	v_sub_u32_e32 v34, v34, v38
	v_mul_u32_u24_e32 v37, 0xd47, v37
	v_mul_lo_u32 v34, v34, s5
	v_xor_b32_e32 v38, 0x7fffffff, v37
	v_sub_u32_e32 v39, 0, v37
	v_cmp_lt_u32_e32 vcc, v34, v37
	v_cndmask_b32_e32 v37, v39, v38, vcc
	v_add_u32_e32 v34, v37, v34
	v_mul_hi_u32 v38, v34, s4
	v_add_u32_e32 v37, -1, v34
	v_lshrrev_b32_e32 v38, 15, v38
	v_cvt_f32_u32_e32 v37, v37
	v_mul_u32_u24_e32 v39, 0xadc8, v38
	v_cvt_f32_u32_e32 v35, v35
	v_sub_u32_e32 v34, v34, v39
	v_mul_u32_u24_e32 v38, 0xd47, v38
	v_mul_lo_u32 v34, v34, s5
	v_xor_b32_e32 v39, 0x7fffffff, v38
	v_sub_u32_e32 v40, 0, v38
	v_cmp_lt_u32_e32 vcc, v34, v38
	v_fma_f32 v37, v37, s8, 0
	v_cndmask_b32_e32 v38, v40, v39, vcc
	v_fma_f32 v35, v35, s8, 0
	v_mul_f32_e32 v37, v37, v37
	v_add_u32_e32 v34, v38, v34
	v_fmac_f32_e32 v37, v35, v35
	v_mul_hi_u32 v38, v34, s4
	v_mul_f32_e32 v39, 0x4f800000, v37
	v_lshrrev_b32_e32 v38, 15, v38
	v_cmp_gt_f32_e32 vcc, s9, v37
	v_cndmask_b32_e32 v37, v37, v39, vcc
	v_mul_u32_u24_e32 v39, 0xadc8, v38
	v_add_u32_e32 v35, -1, v34
	v_sqrt_f32_e32 v40, v37
	v_sub_u32_e32 v34, v34, v39
	v_mul_u32_u24_e32 v38, 0xd47, v38
	v_mul_lo_u32 v34, v34, s5
	v_xor_b32_e32 v39, 0x7fffffff, v38
	v_sub_u32_e32 v41, 0, v38
	v_cmp_lt_u32_e64 s[0:1], v34, v38
	v_cndmask_b32_e64 v38, v41, v39, s[0:1]
	v_add_u32_e32 v34, v38, v34
	v_add_u32_e32 v38, -1, v40
	v_add_u32_e32 v39, 1, v40
	v_add_u32_e32 v41, -1, v34
	v_fma_f32 v42, -v38, v40, v37
	v_fma_f32 v43, -v39, v40, v37
	v_cvt_f32_u32_e32 v41, v41
	v_cmp_ge_f32_e64 s[0:1], 0, v42
	v_cvt_f32_u32_e32 v35, v35
	v_cndmask_b32_e64 v38, v40, v38, s[0:1]
	v_cmp_lt_f32_e64 s[0:1], 0, v43
	v_cndmask_b32_e64 v38, v38, v39, s[0:1]
	v_mul_f32_e32 v39, 0x37800000, v38
	v_cndmask_b32_e32 v38, v38, v39, vcc
	v_fma_f32 v39, v41, s8, 0
	v_cmp_class_f32_e32 vcc, v37, v33
	v_fma_f32 v35, v35, s8, 0
	v_cndmask_b32_e32 v37, v38, v37, vcc
	v_mul_f32_e32 v38, v39, v39
	v_add_f32_e32 v36, 1.0, v31
	v_cmp_nge_f32_e32 vcc, 1.0, v37
	v_fmac_f32_e32 v38, v35, v35
	v_cndmask_b32_e32 v31, v36, v31, vcc
	v_mul_f32_e32 v35, 0x4f800000, v38
	v_cmp_gt_f32_e32 vcc, s9, v38
	v_cndmask_b32_e32 v35, v38, v35, vcc
	v_sqrt_f32_e32 v37, v35
	s_add_i32 s3, s3, -2
	v_add_f32_e32 v36, 1.0, v31
	s_cmp_lg_u32 s3, 0
	v_add_u32_e32 v38, -1, v37
	v_add_u32_e32 v39, 1, v37
	v_fma_f32 v40, -v38, v37, v35
	v_fma_f32 v41, -v39, v37, v35
	v_cmp_ge_f32_e64 s[0:1], 0, v40
	v_cndmask_b32_e64 v37, v37, v38, s[0:1]
	v_cmp_lt_f32_e64 s[0:1], 0, v41
	v_cndmask_b32_e64 v37, v37, v39, s[0:1]
	v_mul_f32_e32 v38, 0x37800000, v37
	v_cndmask_b32_e32 v37, v37, v38, vcc
	v_cmp_class_f32_e32 vcc, v35, v33
	v_cndmask_b32_e32 v35, v37, v35, vcc
	v_cmp_nge_f32_e32 vcc, 1.0, v35
	v_cndmask_b32_e32 v31, v36, v31, vcc
	s_cbranch_scc1 .LBB29_313
; %bb.314:
	v_add_u32_e32 v5, 0x7fcd6c96, v5
	v_lshrrev_b32_e32 v33, 19, v5
	v_xor_b32_e32 v5, v5, v33
	v_xor_b32_e32 v5, 0xc761c23c, v5
	v_lshl_add_u32 v5, v5, 5, v5
	v_mov_b32_e32 v34, 0xaccf6200
	v_add_u32_e32 v33, 0xe9f8cc1d, v5
	v_lshl_add_u32 v5, v5, 9, v34
	v_xor_b32_e32 v5, v33, v5
	v_lshlrev_b32_e32 v33, 3, v5
	s_mov_b32 s0, 0xfd7046c5
	v_add3_u32 v5, v5, v33, s0
	v_xor_b32_sdwa v5, v5, v5 dst_sel:DWORD dst_unused:UNUSED_PAD src0_sel:DWORD src1_sel:WORD_1
	v_xor_b32_e32 v5, 0xb55a4f09, v5
	v_mul_hi_u32 v33, v5, 3
	v_sub_u32_e32 v34, v5, v33
	v_lshrrev_b32_e32 v34, 1, v34
	v_add_u32_e32 v33, v34, v33
	v_lshrrev_b32_e32 v33, 30, v33
	s_brev_b32 s0, -2
	v_mul_lo_u32 v33, v33, s0
	v_sub_u32_e32 v5, v5, v33
	v_max_u32_e32 v34, 1, v5
	s_movk_i32 s3, 0x2710
	v_mov_b32_e32 v5, 0
	s_mov_b32 s4, 0xbc8f1391
	s_mov_b32 s5, 0xbc8f
	s_brev_b32 s8, 12
	s_mov_b32 s9, 0xf800000
	v_mov_b32_e32 v33, 0x260
.LBB29_315:                             ; =>This Inner Loop Header: Depth=1
	v_mul_hi_u32 v35, v34, s4
	v_lshrrev_b32_e32 v35, 15, v35
	v_mul_u32_u24_e32 v37, 0xadc8, v35
	v_sub_u32_e32 v34, v34, v37
	v_mul_u32_u24_e32 v35, 0xd47, v35
	v_mul_lo_u32 v34, v34, s5
	v_xor_b32_e32 v37, 0x7fffffff, v35
	v_sub_u32_e32 v38, 0, v35
	v_cmp_lt_u32_e32 vcc, v34, v35
	v_cndmask_b32_e32 v35, v38, v37, vcc
	v_add_u32_e32 v34, v35, v34
	v_mul_hi_u32 v37, v34, s4
	v_lshrrev_b32_e32 v37, 15, v37
	v_mul_u32_u24_e32 v38, 0xadc8, v37
	v_add_u32_e32 v35, -1, v34
	v_sub_u32_e32 v34, v34, v38
	v_mul_u32_u24_e32 v37, 0xd47, v37
	v_mul_lo_u32 v34, v34, s5
	v_xor_b32_e32 v38, 0x7fffffff, v37
	v_sub_u32_e32 v39, 0, v37
	v_cmp_lt_u32_e32 vcc, v34, v37
	v_cndmask_b32_e32 v37, v39, v38, vcc
	v_add_u32_e32 v34, v37, v34
	v_mul_hi_u32 v38, v34, s4
	v_add_u32_e32 v37, -1, v34
	v_lshrrev_b32_e32 v38, 15, v38
	v_cvt_f32_u32_e32 v37, v37
	v_mul_u32_u24_e32 v39, 0xadc8, v38
	v_cvt_f32_u32_e32 v35, v35
	v_sub_u32_e32 v34, v34, v39
	v_mul_u32_u24_e32 v38, 0xd47, v38
	v_mul_lo_u32 v34, v34, s5
	v_xor_b32_e32 v39, 0x7fffffff, v38
	v_sub_u32_e32 v40, 0, v38
	v_cmp_lt_u32_e32 vcc, v34, v38
	v_fma_f32 v37, v37, s8, 0
	v_cndmask_b32_e32 v38, v40, v39, vcc
	v_fma_f32 v35, v35, s8, 0
	v_mul_f32_e32 v37, v37, v37
	v_add_u32_e32 v34, v38, v34
	v_fmac_f32_e32 v37, v35, v35
	v_mul_hi_u32 v38, v34, s4
	v_mul_f32_e32 v39, 0x4f800000, v37
	v_lshrrev_b32_e32 v38, 15, v38
	v_cmp_gt_f32_e32 vcc, s9, v37
	v_cndmask_b32_e32 v37, v37, v39, vcc
	v_mul_u32_u24_e32 v39, 0xadc8, v38
	v_add_u32_e32 v35, -1, v34
	v_sqrt_f32_e32 v40, v37
	v_sub_u32_e32 v34, v34, v39
	v_mul_u32_u24_e32 v38, 0xd47, v38
	v_mul_lo_u32 v34, v34, s5
	v_xor_b32_e32 v39, 0x7fffffff, v38
	v_sub_u32_e32 v41, 0, v38
	v_cmp_lt_u32_e64 s[0:1], v34, v38
	v_cndmask_b32_e64 v38, v41, v39, s[0:1]
	v_add_u32_e32 v34, v38, v34
	v_add_u32_e32 v38, -1, v40
	v_add_u32_e32 v39, 1, v40
	v_add_u32_e32 v41, -1, v34
	v_fma_f32 v42, -v38, v40, v37
	v_fma_f32 v43, -v39, v40, v37
	v_cvt_f32_u32_e32 v41, v41
	v_cmp_ge_f32_e64 s[0:1], 0, v42
	v_cvt_f32_u32_e32 v35, v35
	v_cndmask_b32_e64 v38, v40, v38, s[0:1]
	v_cmp_lt_f32_e64 s[0:1], 0, v43
	v_cndmask_b32_e64 v38, v38, v39, s[0:1]
	v_mul_f32_e32 v39, 0x37800000, v38
	v_cndmask_b32_e32 v38, v38, v39, vcc
	v_fma_f32 v39, v41, s8, 0
	v_cmp_class_f32_e32 vcc, v37, v33
	v_fma_f32 v35, v35, s8, 0
	v_cndmask_b32_e32 v37, v38, v37, vcc
	v_mul_f32_e32 v38, v39, v39
	v_add_f32_e32 v36, 1.0, v5
	v_cmp_nge_f32_e32 vcc, 1.0, v37
	v_fmac_f32_e32 v38, v35, v35
	v_cndmask_b32_e32 v5, v36, v5, vcc
	v_mul_f32_e32 v35, 0x4f800000, v38
	v_cmp_gt_f32_e32 vcc, s9, v38
	v_cndmask_b32_e32 v35, v38, v35, vcc
	v_sqrt_f32_e32 v37, v35
	s_add_i32 s3, s3, -2
	v_add_f32_e32 v36, 1.0, v5
	s_cmp_lg_u32 s3, 0
	v_add_u32_e32 v38, -1, v37
	v_add_u32_e32 v39, 1, v37
	v_fma_f32 v40, -v38, v37, v35
	v_fma_f32 v41, -v39, v37, v35
	v_cmp_ge_f32_e64 s[0:1], 0, v40
	v_cndmask_b32_e64 v37, v37, v38, s[0:1]
	v_cmp_lt_f32_e64 s[0:1], 0, v41
	v_cndmask_b32_e64 v37, v37, v39, s[0:1]
	v_mul_f32_e32 v38, 0x37800000, v37
	v_cndmask_b32_e32 v37, v37, v38, vcc
	v_cmp_class_f32_e32 vcc, v35, v33
	v_cndmask_b32_e32 v35, v37, v35, vcc
	v_cmp_nge_f32_e32 vcc, 1.0, v35
	v_cndmask_b32_e32 v5, v36, v5, vcc
	s_cbranch_scc1 .LBB29_315
; %bb.316:
	v_mul_f32_e32 v28, 4.0, v28
	s_mov_b32 s0, 0x461c4000
	v_div_scale_f32 v33, s[4:5], s0, s0, v28
	v_rcp_f32_e32 v34, v33
	v_mul_f32_e32 v23, 4.0, v23
	v_mul_f32_e32 v22, 4.0, v22
	;; [unrolled: 1-line block ×3, first 2 shown]
	v_fma_f32 v35, -v33, v34, 1.0
	v_fmac_f32_e32 v34, v35, v34
	v_div_scale_f32 v35, vcc, v28, s0, v28
	v_mul_f32_e32 v36, v35, v34
	v_fma_f32 v37, -v33, v36, v35
	v_fmac_f32_e32 v36, v37, v34
	v_fma_f32 v33, -v33, v36, v35
	v_mul_f32_e32 v35, 4.0, v27
	v_div_scale_f32 v37, s[4:5], s0, s0, v35
	v_rcp_f32_e32 v38, v37
	v_div_fmas_f32 v27, v33, v34, v36
	v_div_fixup_f32 v27, v27, s0, v28
	v_mul_f32_e32 v28, 4.0, v32
	v_fma_f32 v32, -v37, v38, 1.0
	v_fmac_f32_e32 v38, v32, v38
	v_div_scale_f32 v32, vcc, v35, s0, v35
	v_mul_f32_e32 v33, v32, v38
	v_fma_f32 v34, -v37, v33, v32
	v_fmac_f32_e32 v33, v34, v38
	v_mul_f32_e32 v34, 4.0, v26
	v_div_scale_f32 v36, s[4:5], s0, s0, v34
	v_fma_f32 v32, -v37, v33, v32
	v_rcp_f32_e32 v37, v36
	v_div_fmas_f32 v26, v32, v38, v33
	v_div_fixup_f32 v26, v26, s0, v35
	v_mul_f32_e32 v20, 4.0, v20
	v_fma_f32 v32, -v36, v37, 1.0
	v_fmac_f32_e32 v37, v32, v37
	v_div_scale_f32 v32, vcc, v34, s0, v34
	v_mul_f32_e32 v33, v32, v37
	v_fma_f32 v35, -v36, v33, v32
	v_fmac_f32_e32 v33, v35, v37
	v_mul_f32_e32 v35, 4.0, v25
	v_fma_f32 v32, -v36, v33, v32
	v_div_scale_f32 v36, s[4:5], s0, s0, v35
	v_rcp_f32_e32 v38, v36
	v_div_fmas_f32 v25, v32, v37, v33
	v_div_fixup_f32 v25, v25, s0, v34
	v_mul_f32_e32 v19, 4.0, v19
	v_fma_f32 v32, -v36, v38, 1.0
	v_fmac_f32_e32 v38, v32, v38
	v_div_scale_f32 v32, vcc, v35, s0, v35
	v_mul_f32_e32 v33, v32, v38
	v_fma_f32 v34, -v36, v33, v32
	v_fmac_f32_e32 v33, v34, v38
	v_mul_f32_e32 v34, 4.0, v24
	v_fma_f32 v32, -v36, v33, v32
	v_div_scale_f32 v36, s[4:5], s0, s0, v34
	v_rcp_f32_e32 v37, v36
	v_div_fmas_f32 v24, v32, v38, v33
	v_div_fixup_f32 v24, v24, s0, v35
	v_mul_f32_e32 v18, 4.0, v18
	v_fma_f32 v32, -v36, v37, 1.0
	v_fmac_f32_e32 v37, v32, v37
	v_div_scale_f32 v32, vcc, v34, s0, v34
	v_mul_f32_e32 v33, v32, v37
	v_fma_f32 v35, -v36, v33, v32
	v_fmac_f32_e32 v33, v35, v37
	v_div_scale_f32 v35, s[4:5], s0, s0, v23
	v_fma_f32 v32, -v36, v33, v32
	v_rcp_f32_e32 v36, v35
	v_div_fmas_f32 v32, v32, v37, v33
	v_div_fixup_f32 v32, v32, s0, v34
	v_mul_f32_e32 v17, 4.0, v17
	v_fma_f32 v33, -v35, v36, 1.0
	v_fmac_f32_e32 v36, v33, v36
	v_div_scale_f32 v33, vcc, v23, s0, v23
	v_mul_f32_e32 v34, v33, v36
	v_fma_f32 v37, -v35, v34, v33
	v_fmac_f32_e32 v34, v37, v36
	v_fma_f32 v33, -v35, v34, v33
	v_div_scale_f32 v35, s[4:5], s0, s0, v22
	v_rcp_f32_e32 v37, v35
	v_div_fmas_f32 v33, v33, v36, v34
	v_div_fixup_f32 v23, v33, s0, v23
	v_mul_f32_e32 v16, 4.0, v16
	v_fma_f32 v33, -v35, v37, 1.0
	v_fmac_f32_e32 v37, v33, v37
	v_div_scale_f32 v33, vcc, v22, s0, v22
	v_mul_f32_e32 v34, v33, v37
	v_fma_f32 v36, -v35, v34, v33
	v_fmac_f32_e32 v34, v36, v37
	v_fma_f32 v33, -v35, v34, v33
	v_div_scale_f32 v35, s[4:5], s0, s0, v21
	;; [unrolled: 12-line block ×20, first 2 shown]
	v_rcp_f32_e32 v36, v35
	v_div_fmas_f32 v33, v33, v37, v34
	v_div_fixup_f32 v3, v33, s0, v3
	v_fma_f32 v33, -v35, v36, 1.0
	v_fmac_f32_e32 v36, v33, v36
	v_div_scale_f32 v33, vcc, v2, s0, v2
	v_mul_f32_e32 v34, v33, v36
	v_fma_f32 v37, -v35, v34, v33
	v_fmac_f32_e32 v34, v37, v36
	v_fma_f32 v33, -v35, v34, v33
	v_div_scale_f32 v35, s[4:5], s0, s0, v1
	v_rcp_f32_e32 v37, v35
	v_div_fmas_f32 v33, v33, v36, v34
	v_div_fixup_f32 v2, v33, s0, v2
	v_fma_f32 v33, -v35, v37, 1.0
	v_fmac_f32_e32 v37, v33, v37
	v_div_scale_f32 v33, vcc, v1, s0, v1
	v_mul_f32_e32 v34, v33, v37
	v_fma_f32 v36, -v35, v34, v33
	v_fmac_f32_e32 v34, v36, v37
	v_fma_f32 v33, -v35, v34, v33
	v_div_scale_f32 v35, s[4:5], s0, s0, v29
	v_rcp_f32_e32 v36, v35
	v_div_fmas_f32 v33, v33, v37, v34
	v_div_fixup_f32 v1, v33, s0, v1
	v_add_f32_e32 v1, v1, v2
	v_fma_f32 v33, -v35, v36, 1.0
	v_fmac_f32_e32 v36, v33, v36
	v_div_scale_f32 v33, vcc, v29, s0, v29
	v_mul_f32_e32 v34, v33, v36
	v_fma_f32 v37, -v35, v34, v33
	v_fmac_f32_e32 v34, v37, v36
	v_fma_f32 v33, -v35, v34, v33
	v_div_scale_f32 v35, s[4:5], s0, s0, v28
	v_rcp_f32_e32 v37, v35
	v_div_fmas_f32 v33, v33, v36, v34
	v_div_fixup_f32 v29, v33, s0, v29
	v_add_f32_e32 v1, v1, v3
	;; [unrolled: 12-line block ×3, first 2 shown]
	v_fma_f32 v33, -v35, v36, 1.0
	v_fmac_f32_e32 v36, v33, v36
	v_div_scale_f32 v33, vcc, v30, s0, v30
	v_add_f32_e32 v1, v1, v6
	v_mul_f32_e32 v34, v33, v36
	v_add_f32_e32 v1, v1, v7
	v_fma_f32 v37, -v35, v34, v33
	v_add_f32_e32 v1, v1, v8
	v_fmac_f32_e32 v34, v37, v36
	v_add_f32_e32 v1, v1, v9
	v_fma_f32 v33, -v35, v34, v33
	v_div_scale_f32 v35, s[4:5], s0, s0, v31
	v_add_f32_e32 v1, v1, v10
	v_rcp_f32_e32 v37, v35
	v_add_f32_e32 v1, v1, v11
	v_add_f32_e32 v1, v1, v12
	;; [unrolled: 1-line block ×3, first 2 shown]
	v_div_fmas_f32 v33, v33, v36, v34
	v_add_f32_e32 v1, v1, v14
	v_div_fixup_f32 v30, v33, s0, v30
	v_fma_f32 v33, -v35, v37, 1.0
	v_add_f32_e32 v1, v1, v15
	v_fmac_f32_e32 v37, v33, v37
	v_div_scale_f32 v33, vcc, v31, s0, v31
	v_add_f32_e32 v1, v1, v16
	v_mul_f32_e32 v34, v33, v37
	v_add_f32_e32 v1, v1, v17
	v_fma_f32 v36, -v35, v34, v33
	v_add_f32_e32 v1, v1, v18
	v_fmac_f32_e32 v34, v36, v37
	v_add_f32_e32 v1, v1, v19
	v_fma_f32 v33, -v35, v34, v33
	v_div_scale_f32 v35, s[4:5], s0, s0, v5
	v_add_f32_e32 v1, v1, v20
	v_rcp_f32_e32 v36, v35
	v_add_f32_e32 v1, v1, v21
	v_add_f32_e32 v1, v1, v22
	;; [unrolled: 1-line block ×3, first 2 shown]
	v_div_fmas_f32 v33, v33, v37, v34
	v_add_f32_e32 v1, v1, v32
	v_div_fixup_f32 v31, v33, s0, v31
	v_fma_f32 v33, -v35, v36, 1.0
	v_add_f32_e32 v1, v1, v24
	v_fmac_f32_e32 v36, v33, v36
	v_div_scale_f32 v33, vcc, v5, s0, v5
	v_add_f32_e32 v1, v1, v25
	v_mul_f32_e32 v34, v33, v36
	v_add_f32_e32 v1, v1, v26
	v_fma_f32 v37, -v35, v34, v33
	v_add_f32_e32 v1, v1, v27
	v_fmac_f32_e32 v34, v37, v36
	v_add_f32_e32 v1, v1, v29
	v_fma_f32 v33, -v35, v34, v33
	v_add_f32_e32 v1, v1, v28
	v_div_fmas_f32 v33, v33, v36, v34
	v_add_f32_e32 v1, v1, v30
	v_div_fixup_f32 v5, v33, s0, v5
	v_add_f32_e32 v1, v1, v31
	v_add_f32_e32 v2, v1, v5
	v_mbcnt_lo_u32_b32 v1, -1, 0
	v_mbcnt_hi_u32_b32 v1, -1, v1
	v_add_f32_dpp v2, v2, v2 quad_perm:[1,0,3,2] row_mask:0xf bank_mask:0xf bound_ctrl:1
	v_lshlrev_b32_e32 v3, 2, v1
	v_or_b32_e32 v4, 0xfc, v3
	v_add_f32_dpp v2, v2, v2 quad_perm:[2,3,0,1] row_mask:0xf bank_mask:0xf bound_ctrl:1
	v_cmp_eq_u32_e32 vcc, 0, v1
	s_nop 0
	v_add_f32_dpp v2, v2, v2 row_ror:4 row_mask:0xf bank_mask:0xf bound_ctrl:1
	s_nop 1
	v_add_f32_dpp v2, v2, v2 row_ror:8 row_mask:0xf bank_mask:0xf bound_ctrl:1
	s_nop 1
	v_add_f32_dpp v2, v2, v2 row_bcast:15 row_mask:0xf bank_mask:0xf bound_ctrl:1
	s_nop 1
	v_add_f32_dpp v2, v2, v2 row_bcast:31 row_mask:0xf bank_mask:0xf bound_ctrl:1
	ds_bpermute_b32 v2, v4, v2
	s_and_saveexec_b64 s[0:1], vcc
	s_cbranch_execz .LBB29_318
; %bb.317:
	v_lshrrev_b32_e32 v4, 4, v0
	v_and_b32_e32 v4, 0xffffffc, v4
	s_waitcnt lgkmcnt(0)
	ds_write_b32 v4, v2 offset:24
.LBB29_318:
	s_or_b64 exec, exec, s[0:1]
	v_cmp_gt_u32_e32 vcc, 64, v0
	s_waitcnt lgkmcnt(0)
	s_barrier
	s_and_saveexec_b64 s[0:1], vcc
	s_cbranch_execz .LBB29_320
; %bb.319:
	v_and_b32_e32 v1, 1, v1
	v_lshlrev_b32_e32 v1, 2, v1
	ds_read_b32 v1, v1 offset:24
	v_or_b32_e32 v2, 4, v3
	s_waitcnt lgkmcnt(0)
	ds_bpermute_b32 v2, v2, v1
	s_waitcnt lgkmcnt(0)
	v_add_f32_e32 v2, v1, v2
.LBB29_320:
	s_or_b64 exec, exec, s[0:1]
	s_branch .LBB29_455
.LBB29_321:
                                        ; implicit-def: $vgpr2
	s_cbranch_execz .LBB29_455
; %bb.322:
	s_sub_i32 s81, s68, s2
	v_cmp_gt_u32_e32 vcc, s81, v0
                                        ; implicit-def: $vgpr1
	s_and_saveexec_b64 s[2:3], vcc
	s_cbranch_execz .LBB29_326
; %bb.323:
	v_add_u32_e32 v1, s80, v0
	v_lshlrev_b32_e32 v2, 12, v1
	s_mov_b32 s0, 0x7ed55d16
	v_add3_u32 v1, v1, v2, s0
	v_lshrrev_b32_e32 v2, 19, v1
	v_xor_b32_e32 v1, v1, v2
	v_xor_b32_e32 v1, 0xc761c23c, v1
	v_lshl_add_u32 v1, v1, 5, v1
	v_mov_b32_e32 v3, 0xaccf6200
	v_add_u32_e32 v2, 0xe9f8cc1d, v1
	v_lshl_add_u32 v1, v1, 9, v3
	v_xor_b32_e32 v1, v2, v1
	v_lshlrev_b32_e32 v2, 3, v1
	s_mov_b32 s0, 0xfd7046c5
	v_add3_u32 v1, v1, v2, s0
	v_xor_b32_sdwa v1, v1, v1 dst_sel:DWORD dst_unused:UNUSED_PAD src0_sel:DWORD src1_sel:WORD_1
	v_xor_b32_e32 v1, 0xb55a4f09, v1
	v_mul_hi_u32 v2, v1, 3
	v_sub_u32_e32 v3, v1, v2
	v_lshrrev_b32_e32 v3, 1, v3
	v_add_u32_e32 v2, v3, v2
	v_lshrrev_b32_e32 v2, 30, v2
	s_brev_b32 s0, -2
	v_mul_lo_u32 v2, v2, s0
	v_sub_u32_e32 v1, v1, v2
	v_max_u32_e32 v3, 1, v1
	s_movk_i32 s4, 0x2710
	v_mov_b32_e32 v2, 0
	s_mov_b32 s5, 0xbc8f1391
	s_mov_b32 s8, 0xbc8f
	s_brev_b32 s9, 12
	s_mov_b32 s10, 0xf800000
	v_mov_b32_e32 v1, 0x260
.LBB29_324:                             ; =>This Inner Loop Header: Depth=1
	v_mul_hi_u32 v4, v3, s5
	v_lshrrev_b32_e32 v4, 15, v4
	v_mul_u32_u24_e32 v6, 0xadc8, v4
	v_sub_u32_e32 v3, v3, v6
	v_mul_u32_u24_e32 v4, 0xd47, v4
	v_mul_lo_u32 v3, v3, s8
	v_xor_b32_e32 v6, 0x7fffffff, v4
	v_sub_u32_e32 v7, 0, v4
	v_cmp_lt_u32_e32 vcc, v3, v4
	v_cndmask_b32_e32 v4, v7, v6, vcc
	v_add_u32_e32 v3, v4, v3
	v_mul_hi_u32 v6, v3, s5
	v_lshrrev_b32_e32 v6, 15, v6
	v_mul_u32_u24_e32 v7, 0xadc8, v6
	v_add_u32_e32 v4, -1, v3
	v_sub_u32_e32 v3, v3, v7
	v_mul_u32_u24_e32 v6, 0xd47, v6
	v_mul_lo_u32 v3, v3, s8
	v_xor_b32_e32 v7, 0x7fffffff, v6
	v_sub_u32_e32 v8, 0, v6
	v_cmp_lt_u32_e32 vcc, v3, v6
	v_cndmask_b32_e32 v6, v8, v7, vcc
	v_add_u32_e32 v3, v6, v3
	v_mul_hi_u32 v7, v3, s5
	v_add_u32_e32 v6, -1, v3
	v_lshrrev_b32_e32 v7, 15, v7
	v_cvt_f32_u32_e32 v6, v6
	v_mul_u32_u24_e32 v8, 0xadc8, v7
	v_cvt_f32_u32_e32 v4, v4
	v_sub_u32_e32 v3, v3, v8
	v_mul_u32_u24_e32 v7, 0xd47, v7
	v_mul_lo_u32 v3, v3, s8
	v_xor_b32_e32 v8, 0x7fffffff, v7
	v_sub_u32_e32 v9, 0, v7
	v_cmp_lt_u32_e32 vcc, v3, v7
	v_fma_f32 v6, v6, s9, 0
	v_cndmask_b32_e32 v7, v9, v8, vcc
	v_fma_f32 v4, v4, s9, 0
	v_mul_f32_e32 v6, v6, v6
	v_add_u32_e32 v3, v7, v3
	v_fmac_f32_e32 v6, v4, v4
	v_mul_hi_u32 v7, v3, s5
	v_mul_f32_e32 v8, 0x4f800000, v6
	v_lshrrev_b32_e32 v7, 15, v7
	v_cmp_gt_f32_e32 vcc, s10, v6
	v_cndmask_b32_e32 v6, v6, v8, vcc
	v_mul_u32_u24_e32 v8, 0xadc8, v7
	v_add_u32_e32 v4, -1, v3
	v_sqrt_f32_e32 v9, v6
	v_sub_u32_e32 v3, v3, v8
	v_mul_u32_u24_e32 v7, 0xd47, v7
	v_mul_lo_u32 v3, v3, s8
	v_xor_b32_e32 v8, 0x7fffffff, v7
	v_sub_u32_e32 v10, 0, v7
	v_cmp_lt_u32_e64 s[0:1], v3, v7
	v_cndmask_b32_e64 v7, v10, v8, s[0:1]
	v_add_u32_e32 v3, v7, v3
	v_add_u32_e32 v7, -1, v9
	v_add_u32_e32 v8, 1, v9
	v_add_u32_e32 v10, -1, v3
	v_fma_f32 v11, -v7, v9, v6
	v_fma_f32 v12, -v8, v9, v6
	v_cvt_f32_u32_e32 v10, v10
	v_cmp_ge_f32_e64 s[0:1], 0, v11
	v_cvt_f32_u32_e32 v4, v4
	v_cndmask_b32_e64 v7, v9, v7, s[0:1]
	v_cmp_lt_f32_e64 s[0:1], 0, v12
	v_cndmask_b32_e64 v7, v7, v8, s[0:1]
	v_mul_f32_e32 v8, 0x37800000, v7
	v_cndmask_b32_e32 v7, v7, v8, vcc
	v_fma_f32 v8, v10, s9, 0
	v_cmp_class_f32_e32 vcc, v6, v1
	v_fma_f32 v4, v4, s9, 0
	v_cndmask_b32_e32 v6, v7, v6, vcc
	v_mul_f32_e32 v7, v8, v8
	v_add_f32_e32 v5, 1.0, v2
	v_cmp_nge_f32_e32 vcc, 1.0, v6
	v_fmac_f32_e32 v7, v4, v4
	v_cndmask_b32_e32 v2, v5, v2, vcc
	v_mul_f32_e32 v4, 0x4f800000, v7
	v_cmp_gt_f32_e32 vcc, s10, v7
	v_cndmask_b32_e32 v4, v7, v4, vcc
	v_sqrt_f32_e32 v6, v4
	s_add_i32 s4, s4, -2
	v_add_f32_e32 v5, 1.0, v2
	s_cmp_lg_u32 s4, 0
	v_add_u32_e32 v7, -1, v6
	v_add_u32_e32 v8, 1, v6
	v_fma_f32 v9, -v7, v6, v4
	v_fma_f32 v10, -v8, v6, v4
	v_cmp_ge_f32_e64 s[0:1], 0, v9
	v_cndmask_b32_e64 v6, v6, v7, s[0:1]
	v_cmp_lt_f32_e64 s[0:1], 0, v10
	v_cndmask_b32_e64 v6, v6, v8, s[0:1]
	v_mul_f32_e32 v7, 0x37800000, v6
	v_cndmask_b32_e32 v6, v6, v7, vcc
	v_cmp_class_f32_e32 vcc, v4, v1
	v_cndmask_b32_e32 v4, v6, v4, vcc
	v_cmp_nge_f32_e32 vcc, 1.0, v4
	v_cndmask_b32_e32 v2, v5, v2, vcc
	s_cbranch_scc1 .LBB29_324
; %bb.325:
	v_mul_f32_e32 v1, 4.0, v2
	s_mov_b32 s4, 0x461c4000
	v_div_scale_f32 v2, s[0:1], s4, s4, v1
	v_rcp_f32_e32 v3, v2
	v_fma_f32 v4, -v2, v3, 1.0
	v_fmac_f32_e32 v3, v4, v3
	v_div_scale_f32 v4, vcc, v1, s4, v1
	v_mul_f32_e32 v5, v4, v3
	v_fma_f32 v6, -v2, v5, v4
	v_fmac_f32_e32 v5, v6, v3
	v_fma_f32 v2, -v2, v5, v4
	v_div_fmas_f32 v2, v2, v3, v5
	v_div_fixup_f32 v1, v2, s4, v1
.LBB29_326:
	s_or_b64 exec, exec, s[2:3]
	v_add_u32_e32 v3, 0x80, v0
	v_cmp_gt_u32_e64 s[0:1], s81, v3
                                        ; implicit-def: $vgpr2
	s_and_saveexec_b64 s[4:5], s[0:1]
	s_cbranch_execz .LBB29_330
; %bb.327:
	v_add_u32_e32 v2, s80, v3
	v_lshlrev_b32_e32 v3, 12, v2
	s_mov_b32 s2, 0x7ed55d16
	v_add3_u32 v2, v2, v3, s2
	v_lshrrev_b32_e32 v3, 19, v2
	v_xor_b32_e32 v2, v2, v3
	v_xor_b32_e32 v2, 0xc761c23c, v2
	v_lshl_add_u32 v2, v2, 5, v2
	v_mov_b32_e32 v4, 0xaccf6200
	v_add_u32_e32 v3, 0xe9f8cc1d, v2
	v_lshl_add_u32 v2, v2, 9, v4
	v_xor_b32_e32 v2, v3, v2
	v_lshlrev_b32_e32 v3, 3, v2
	s_mov_b32 s2, 0xfd7046c5
	v_add3_u32 v2, v2, v3, s2
	v_xor_b32_sdwa v2, v2, v2 dst_sel:DWORD dst_unused:UNUSED_PAD src0_sel:DWORD src1_sel:WORD_1
	v_xor_b32_e32 v2, 0xb55a4f09, v2
	v_mul_hi_u32 v3, v2, 3
	v_sub_u32_e32 v4, v2, v3
	v_lshrrev_b32_e32 v4, 1, v4
	v_add_u32_e32 v3, v4, v3
	v_lshrrev_b32_e32 v3, 30, v3
	s_brev_b32 s2, -2
	v_mul_lo_u32 v3, v3, s2
	v_sub_u32_e32 v2, v2, v3
	v_max_u32_e32 v4, 1, v2
	s_movk_i32 s8, 0x2710
	v_mov_b32_e32 v3, 0
	s_mov_b32 s9, 0xbc8f1391
	s_mov_b32 s10, 0xbc8f
	s_brev_b32 s11, 12
	s_mov_b32 s12, 0xf800000
	v_mov_b32_e32 v2, 0x260
.LBB29_328:                             ; =>This Inner Loop Header: Depth=1
	v_mul_hi_u32 v5, v4, s9
	v_lshrrev_b32_e32 v5, 15, v5
	v_mul_u32_u24_e32 v7, 0xadc8, v5
	v_sub_u32_e32 v4, v4, v7
	v_mul_u32_u24_e32 v5, 0xd47, v5
	v_mul_lo_u32 v4, v4, s10
	v_xor_b32_e32 v7, 0x7fffffff, v5
	v_sub_u32_e32 v8, 0, v5
	v_cmp_lt_u32_e32 vcc, v4, v5
	v_cndmask_b32_e32 v5, v8, v7, vcc
	v_add_u32_e32 v4, v5, v4
	v_mul_hi_u32 v7, v4, s9
	v_lshrrev_b32_e32 v7, 15, v7
	v_mul_u32_u24_e32 v8, 0xadc8, v7
	v_add_u32_e32 v5, -1, v4
	v_sub_u32_e32 v4, v4, v8
	v_mul_u32_u24_e32 v7, 0xd47, v7
	v_mul_lo_u32 v4, v4, s10
	v_xor_b32_e32 v8, 0x7fffffff, v7
	v_sub_u32_e32 v9, 0, v7
	v_cmp_lt_u32_e32 vcc, v4, v7
	v_cndmask_b32_e32 v7, v9, v8, vcc
	v_add_u32_e32 v4, v7, v4
	v_mul_hi_u32 v8, v4, s9
	v_add_u32_e32 v7, -1, v4
	v_lshrrev_b32_e32 v8, 15, v8
	v_cvt_f32_u32_e32 v7, v7
	v_mul_u32_u24_e32 v9, 0xadc8, v8
	v_cvt_f32_u32_e32 v5, v5
	v_sub_u32_e32 v4, v4, v9
	v_mul_u32_u24_e32 v8, 0xd47, v8
	v_mul_lo_u32 v4, v4, s10
	v_xor_b32_e32 v9, 0x7fffffff, v8
	v_sub_u32_e32 v10, 0, v8
	v_cmp_lt_u32_e32 vcc, v4, v8
	v_fma_f32 v7, v7, s11, 0
	v_cndmask_b32_e32 v8, v10, v9, vcc
	v_fma_f32 v5, v5, s11, 0
	v_mul_f32_e32 v7, v7, v7
	v_add_u32_e32 v4, v8, v4
	v_fmac_f32_e32 v7, v5, v5
	v_mul_hi_u32 v8, v4, s9
	v_mul_f32_e32 v9, 0x4f800000, v7
	v_lshrrev_b32_e32 v8, 15, v8
	v_cmp_gt_f32_e32 vcc, s12, v7
	v_cndmask_b32_e32 v7, v7, v9, vcc
	v_mul_u32_u24_e32 v9, 0xadc8, v8
	v_add_u32_e32 v5, -1, v4
	v_sqrt_f32_e32 v10, v7
	v_sub_u32_e32 v4, v4, v9
	v_mul_u32_u24_e32 v8, 0xd47, v8
	v_mul_lo_u32 v4, v4, s10
	v_xor_b32_e32 v9, 0x7fffffff, v8
	v_sub_u32_e32 v11, 0, v8
	v_cmp_lt_u32_e64 s[2:3], v4, v8
	v_cndmask_b32_e64 v8, v11, v9, s[2:3]
	v_add_u32_e32 v4, v8, v4
	v_add_u32_e32 v8, -1, v10
	v_add_u32_e32 v9, 1, v10
	v_add_u32_e32 v11, -1, v4
	v_fma_f32 v12, -v8, v10, v7
	v_fma_f32 v13, -v9, v10, v7
	v_cvt_f32_u32_e32 v11, v11
	v_cmp_ge_f32_e64 s[2:3], 0, v12
	v_cvt_f32_u32_e32 v5, v5
	v_cndmask_b32_e64 v8, v10, v8, s[2:3]
	v_cmp_lt_f32_e64 s[2:3], 0, v13
	v_cndmask_b32_e64 v8, v8, v9, s[2:3]
	v_mul_f32_e32 v9, 0x37800000, v8
	v_cndmask_b32_e32 v8, v8, v9, vcc
	v_fma_f32 v9, v11, s11, 0
	v_cmp_class_f32_e32 vcc, v7, v2
	v_fma_f32 v5, v5, s11, 0
	v_cndmask_b32_e32 v7, v8, v7, vcc
	v_mul_f32_e32 v8, v9, v9
	v_add_f32_e32 v6, 1.0, v3
	v_cmp_nge_f32_e32 vcc, 1.0, v7
	v_fmac_f32_e32 v8, v5, v5
	v_cndmask_b32_e32 v3, v6, v3, vcc
	v_mul_f32_e32 v5, 0x4f800000, v8
	v_cmp_gt_f32_e32 vcc, s12, v8
	v_cndmask_b32_e32 v5, v8, v5, vcc
	v_sqrt_f32_e32 v7, v5
	s_add_i32 s8, s8, -2
	v_add_f32_e32 v6, 1.0, v3
	s_cmp_lg_u32 s8, 0
	v_add_u32_e32 v8, -1, v7
	v_add_u32_e32 v9, 1, v7
	v_fma_f32 v10, -v8, v7, v5
	v_fma_f32 v11, -v9, v7, v5
	v_cmp_ge_f32_e64 s[2:3], 0, v10
	v_cndmask_b32_e64 v7, v7, v8, s[2:3]
	v_cmp_lt_f32_e64 s[2:3], 0, v11
	v_cndmask_b32_e64 v7, v7, v9, s[2:3]
	v_mul_f32_e32 v8, 0x37800000, v7
	v_cndmask_b32_e32 v7, v7, v8, vcc
	v_cmp_class_f32_e32 vcc, v5, v2
	v_cndmask_b32_e32 v5, v7, v5, vcc
	v_cmp_nge_f32_e32 vcc, 1.0, v5
	v_cndmask_b32_e32 v3, v6, v3, vcc
	s_cbranch_scc1 .LBB29_328
; %bb.329:
	v_mul_f32_e32 v2, 4.0, v3
	s_mov_b32 s8, 0x461c4000
	v_div_scale_f32 v3, s[2:3], s8, s8, v2
	v_rcp_f32_e32 v4, v3
	v_fma_f32 v5, -v3, v4, 1.0
	v_fmac_f32_e32 v4, v5, v4
	v_div_scale_f32 v5, vcc, v2, s8, v2
	v_mul_f32_e32 v6, v5, v4
	v_fma_f32 v7, -v3, v6, v5
	v_fmac_f32_e32 v6, v7, v4
	v_fma_f32 v3, -v3, v6, v5
	v_div_fmas_f32 v3, v3, v4, v6
	v_div_fixup_f32 v2, v3, s8, v2
.LBB29_330:
	s_or_b64 exec, exec, s[4:5]
	v_add_u32_e32 v4, 0x100, v0
	v_cmp_gt_u32_e64 s[2:3], s81, v4
                                        ; implicit-def: $vgpr3
	s_and_saveexec_b64 s[8:9], s[2:3]
	s_cbranch_execz .LBB29_334
; %bb.331:
	v_add_u32_e32 v3, s80, v4
	v_lshlrev_b32_e32 v4, 12, v3
	s_mov_b32 s4, 0x7ed55d16
	v_add3_u32 v3, v3, v4, s4
	v_lshrrev_b32_e32 v4, 19, v3
	v_xor_b32_e32 v3, v3, v4
	v_xor_b32_e32 v3, 0xc761c23c, v3
	v_lshl_add_u32 v3, v3, 5, v3
	v_mov_b32_e32 v5, 0xaccf6200
	v_add_u32_e32 v4, 0xe9f8cc1d, v3
	v_lshl_add_u32 v3, v3, 9, v5
	v_xor_b32_e32 v3, v4, v3
	v_lshlrev_b32_e32 v4, 3, v3
	s_mov_b32 s4, 0xfd7046c5
	v_add3_u32 v3, v3, v4, s4
	v_xor_b32_sdwa v3, v3, v3 dst_sel:DWORD dst_unused:UNUSED_PAD src0_sel:DWORD src1_sel:WORD_1
	v_xor_b32_e32 v3, 0xb55a4f09, v3
	v_mul_hi_u32 v4, v3, 3
	v_sub_u32_e32 v5, v3, v4
	v_lshrrev_b32_e32 v5, 1, v5
	v_add_u32_e32 v4, v5, v4
	v_lshrrev_b32_e32 v4, 30, v4
	s_brev_b32 s4, -2
	v_mul_lo_u32 v4, v4, s4
	v_sub_u32_e32 v3, v3, v4
	v_max_u32_e32 v5, 1, v3
	s_movk_i32 s10, 0x2710
	v_mov_b32_e32 v4, 0
	s_mov_b32 s11, 0xbc8f1391
	s_mov_b32 s12, 0xbc8f
	s_brev_b32 s13, 12
	s_mov_b32 s14, 0xf800000
	v_mov_b32_e32 v3, 0x260
.LBB29_332:                             ; =>This Inner Loop Header: Depth=1
	v_mul_hi_u32 v6, v5, s11
	v_lshrrev_b32_e32 v6, 15, v6
	v_mul_u32_u24_e32 v8, 0xadc8, v6
	v_sub_u32_e32 v5, v5, v8
	v_mul_u32_u24_e32 v6, 0xd47, v6
	v_mul_lo_u32 v5, v5, s12
	v_xor_b32_e32 v8, 0x7fffffff, v6
	v_sub_u32_e32 v9, 0, v6
	v_cmp_lt_u32_e32 vcc, v5, v6
	v_cndmask_b32_e32 v6, v9, v8, vcc
	v_add_u32_e32 v5, v6, v5
	v_mul_hi_u32 v8, v5, s11
	v_lshrrev_b32_e32 v8, 15, v8
	v_mul_u32_u24_e32 v9, 0xadc8, v8
	v_add_u32_e32 v6, -1, v5
	v_sub_u32_e32 v5, v5, v9
	v_mul_u32_u24_e32 v8, 0xd47, v8
	v_mul_lo_u32 v5, v5, s12
	v_xor_b32_e32 v9, 0x7fffffff, v8
	v_sub_u32_e32 v10, 0, v8
	v_cmp_lt_u32_e32 vcc, v5, v8
	v_cndmask_b32_e32 v8, v10, v9, vcc
	v_add_u32_e32 v5, v8, v5
	v_mul_hi_u32 v9, v5, s11
	v_add_u32_e32 v8, -1, v5
	v_lshrrev_b32_e32 v9, 15, v9
	v_cvt_f32_u32_e32 v8, v8
	v_mul_u32_u24_e32 v10, 0xadc8, v9
	v_cvt_f32_u32_e32 v6, v6
	v_sub_u32_e32 v5, v5, v10
	v_mul_u32_u24_e32 v9, 0xd47, v9
	v_mul_lo_u32 v5, v5, s12
	v_xor_b32_e32 v10, 0x7fffffff, v9
	v_sub_u32_e32 v11, 0, v9
	v_cmp_lt_u32_e32 vcc, v5, v9
	v_fma_f32 v8, v8, s13, 0
	v_cndmask_b32_e32 v9, v11, v10, vcc
	v_fma_f32 v6, v6, s13, 0
	v_mul_f32_e32 v8, v8, v8
	v_add_u32_e32 v5, v9, v5
	v_fmac_f32_e32 v8, v6, v6
	v_mul_hi_u32 v9, v5, s11
	v_mul_f32_e32 v10, 0x4f800000, v8
	v_lshrrev_b32_e32 v9, 15, v9
	v_cmp_gt_f32_e32 vcc, s14, v8
	v_cndmask_b32_e32 v8, v8, v10, vcc
	v_mul_u32_u24_e32 v10, 0xadc8, v9
	v_add_u32_e32 v6, -1, v5
	v_sqrt_f32_e32 v11, v8
	v_sub_u32_e32 v5, v5, v10
	v_mul_u32_u24_e32 v9, 0xd47, v9
	v_mul_lo_u32 v5, v5, s12
	v_xor_b32_e32 v10, 0x7fffffff, v9
	v_sub_u32_e32 v12, 0, v9
	v_cmp_lt_u32_e64 s[4:5], v5, v9
	v_cndmask_b32_e64 v9, v12, v10, s[4:5]
	v_add_u32_e32 v5, v9, v5
	v_add_u32_e32 v9, -1, v11
	v_add_u32_e32 v10, 1, v11
	v_add_u32_e32 v12, -1, v5
	v_fma_f32 v13, -v9, v11, v8
	v_fma_f32 v14, -v10, v11, v8
	v_cvt_f32_u32_e32 v12, v12
	v_cmp_ge_f32_e64 s[4:5], 0, v13
	v_cvt_f32_u32_e32 v6, v6
	v_cndmask_b32_e64 v9, v11, v9, s[4:5]
	v_cmp_lt_f32_e64 s[4:5], 0, v14
	v_cndmask_b32_e64 v9, v9, v10, s[4:5]
	v_mul_f32_e32 v10, 0x37800000, v9
	v_cndmask_b32_e32 v9, v9, v10, vcc
	v_fma_f32 v10, v12, s13, 0
	v_cmp_class_f32_e32 vcc, v8, v3
	v_fma_f32 v6, v6, s13, 0
	v_cndmask_b32_e32 v8, v9, v8, vcc
	v_mul_f32_e32 v9, v10, v10
	v_add_f32_e32 v7, 1.0, v4
	v_cmp_nge_f32_e32 vcc, 1.0, v8
	v_fmac_f32_e32 v9, v6, v6
	v_cndmask_b32_e32 v4, v7, v4, vcc
	v_mul_f32_e32 v6, 0x4f800000, v9
	v_cmp_gt_f32_e32 vcc, s14, v9
	v_cndmask_b32_e32 v6, v9, v6, vcc
	v_sqrt_f32_e32 v8, v6
	s_add_i32 s10, s10, -2
	v_add_f32_e32 v7, 1.0, v4
	s_cmp_lg_u32 s10, 0
	v_add_u32_e32 v9, -1, v8
	v_add_u32_e32 v10, 1, v8
	v_fma_f32 v11, -v9, v8, v6
	v_fma_f32 v12, -v10, v8, v6
	v_cmp_ge_f32_e64 s[4:5], 0, v11
	v_cndmask_b32_e64 v8, v8, v9, s[4:5]
	v_cmp_lt_f32_e64 s[4:5], 0, v12
	v_cndmask_b32_e64 v8, v8, v10, s[4:5]
	v_mul_f32_e32 v9, 0x37800000, v8
	v_cndmask_b32_e32 v8, v8, v9, vcc
	v_cmp_class_f32_e32 vcc, v6, v3
	v_cndmask_b32_e32 v6, v8, v6, vcc
	v_cmp_nge_f32_e32 vcc, 1.0, v6
	v_cndmask_b32_e32 v4, v7, v4, vcc
	s_cbranch_scc1 .LBB29_332
; %bb.333:
	v_mul_f32_e32 v3, 4.0, v4
	s_mov_b32 s10, 0x461c4000
	v_div_scale_f32 v4, s[4:5], s10, s10, v3
	v_rcp_f32_e32 v5, v4
	v_fma_f32 v6, -v4, v5, 1.0
	v_fmac_f32_e32 v5, v6, v5
	v_div_scale_f32 v6, vcc, v3, s10, v3
	v_mul_f32_e32 v7, v6, v5
	v_fma_f32 v8, -v4, v7, v6
	v_fmac_f32_e32 v7, v8, v5
	v_fma_f32 v4, -v4, v7, v6
	v_div_fmas_f32 v4, v4, v5, v7
	v_div_fixup_f32 v3, v4, s10, v3
.LBB29_334:
	s_or_b64 exec, exec, s[8:9]
	v_add_u32_e32 v5, 0x180, v0
	v_cmp_gt_u32_e64 s[4:5], s81, v5
                                        ; implicit-def: $vgpr4
	s_and_saveexec_b64 s[10:11], s[4:5]
	s_cbranch_execz .LBB29_338
; %bb.335:
	v_add_u32_e32 v4, s80, v5
	v_lshlrev_b32_e32 v5, 12, v4
	s_mov_b32 s8, 0x7ed55d16
	v_add3_u32 v4, v4, v5, s8
	v_lshrrev_b32_e32 v5, 19, v4
	v_xor_b32_e32 v4, v4, v5
	v_xor_b32_e32 v4, 0xc761c23c, v4
	v_lshl_add_u32 v4, v4, 5, v4
	v_mov_b32_e32 v6, 0xaccf6200
	v_add_u32_e32 v5, 0xe9f8cc1d, v4
	v_lshl_add_u32 v4, v4, 9, v6
	v_xor_b32_e32 v4, v5, v4
	v_lshlrev_b32_e32 v5, 3, v4
	s_mov_b32 s8, 0xfd7046c5
	v_add3_u32 v4, v4, v5, s8
	v_xor_b32_sdwa v4, v4, v4 dst_sel:DWORD dst_unused:UNUSED_PAD src0_sel:DWORD src1_sel:WORD_1
	v_xor_b32_e32 v4, 0xb55a4f09, v4
	v_mul_hi_u32 v5, v4, 3
	v_sub_u32_e32 v6, v4, v5
	v_lshrrev_b32_e32 v6, 1, v6
	v_add_u32_e32 v5, v6, v5
	v_lshrrev_b32_e32 v5, 30, v5
	s_brev_b32 s8, -2
	v_mul_lo_u32 v5, v5, s8
	v_sub_u32_e32 v4, v4, v5
	v_max_u32_e32 v6, 1, v4
	s_movk_i32 s12, 0x2710
	v_mov_b32_e32 v5, 0
	s_mov_b32 s13, 0xbc8f1391
	s_mov_b32 s14, 0xbc8f
	s_brev_b32 s15, 12
	s_mov_b32 s16, 0xf800000
	v_mov_b32_e32 v4, 0x260
.LBB29_336:                             ; =>This Inner Loop Header: Depth=1
	v_mul_hi_u32 v7, v6, s13
	v_lshrrev_b32_e32 v7, 15, v7
	v_mul_u32_u24_e32 v9, 0xadc8, v7
	v_sub_u32_e32 v6, v6, v9
	v_mul_u32_u24_e32 v7, 0xd47, v7
	v_mul_lo_u32 v6, v6, s14
	v_xor_b32_e32 v9, 0x7fffffff, v7
	v_sub_u32_e32 v10, 0, v7
	v_cmp_lt_u32_e32 vcc, v6, v7
	v_cndmask_b32_e32 v7, v10, v9, vcc
	v_add_u32_e32 v6, v7, v6
	v_mul_hi_u32 v9, v6, s13
	v_lshrrev_b32_e32 v9, 15, v9
	v_mul_u32_u24_e32 v10, 0xadc8, v9
	v_add_u32_e32 v7, -1, v6
	v_sub_u32_e32 v6, v6, v10
	v_mul_u32_u24_e32 v9, 0xd47, v9
	v_mul_lo_u32 v6, v6, s14
	v_xor_b32_e32 v10, 0x7fffffff, v9
	v_sub_u32_e32 v11, 0, v9
	v_cmp_lt_u32_e32 vcc, v6, v9
	v_cndmask_b32_e32 v9, v11, v10, vcc
	v_add_u32_e32 v6, v9, v6
	v_mul_hi_u32 v10, v6, s13
	v_add_u32_e32 v9, -1, v6
	v_lshrrev_b32_e32 v10, 15, v10
	v_cvt_f32_u32_e32 v9, v9
	v_mul_u32_u24_e32 v11, 0xadc8, v10
	v_cvt_f32_u32_e32 v7, v7
	v_sub_u32_e32 v6, v6, v11
	v_mul_u32_u24_e32 v10, 0xd47, v10
	v_mul_lo_u32 v6, v6, s14
	v_xor_b32_e32 v11, 0x7fffffff, v10
	v_sub_u32_e32 v12, 0, v10
	v_cmp_lt_u32_e32 vcc, v6, v10
	v_fma_f32 v9, v9, s15, 0
	v_cndmask_b32_e32 v10, v12, v11, vcc
	v_fma_f32 v7, v7, s15, 0
	v_mul_f32_e32 v9, v9, v9
	v_add_u32_e32 v6, v10, v6
	v_fmac_f32_e32 v9, v7, v7
	v_mul_hi_u32 v10, v6, s13
	v_mul_f32_e32 v11, 0x4f800000, v9
	v_lshrrev_b32_e32 v10, 15, v10
	v_cmp_gt_f32_e32 vcc, s16, v9
	v_cndmask_b32_e32 v9, v9, v11, vcc
	v_mul_u32_u24_e32 v11, 0xadc8, v10
	v_add_u32_e32 v7, -1, v6
	v_sqrt_f32_e32 v12, v9
	v_sub_u32_e32 v6, v6, v11
	v_mul_u32_u24_e32 v10, 0xd47, v10
	v_mul_lo_u32 v6, v6, s14
	v_xor_b32_e32 v11, 0x7fffffff, v10
	v_sub_u32_e32 v13, 0, v10
	v_cmp_lt_u32_e64 s[8:9], v6, v10
	v_cndmask_b32_e64 v10, v13, v11, s[8:9]
	v_add_u32_e32 v6, v10, v6
	v_add_u32_e32 v10, -1, v12
	v_add_u32_e32 v11, 1, v12
	v_add_u32_e32 v13, -1, v6
	v_fma_f32 v14, -v10, v12, v9
	v_fma_f32 v15, -v11, v12, v9
	v_cvt_f32_u32_e32 v13, v13
	v_cmp_ge_f32_e64 s[8:9], 0, v14
	v_cvt_f32_u32_e32 v7, v7
	v_cndmask_b32_e64 v10, v12, v10, s[8:9]
	v_cmp_lt_f32_e64 s[8:9], 0, v15
	v_cndmask_b32_e64 v10, v10, v11, s[8:9]
	v_mul_f32_e32 v11, 0x37800000, v10
	v_cndmask_b32_e32 v10, v10, v11, vcc
	v_fma_f32 v11, v13, s15, 0
	v_cmp_class_f32_e32 vcc, v9, v4
	v_fma_f32 v7, v7, s15, 0
	v_cndmask_b32_e32 v9, v10, v9, vcc
	v_mul_f32_e32 v10, v11, v11
	v_add_f32_e32 v8, 1.0, v5
	v_cmp_nge_f32_e32 vcc, 1.0, v9
	v_fmac_f32_e32 v10, v7, v7
	v_cndmask_b32_e32 v5, v8, v5, vcc
	v_mul_f32_e32 v7, 0x4f800000, v10
	v_cmp_gt_f32_e32 vcc, s16, v10
	v_cndmask_b32_e32 v7, v10, v7, vcc
	v_sqrt_f32_e32 v9, v7
	s_add_i32 s12, s12, -2
	v_add_f32_e32 v8, 1.0, v5
	s_cmp_lg_u32 s12, 0
	v_add_u32_e32 v10, -1, v9
	v_add_u32_e32 v11, 1, v9
	v_fma_f32 v12, -v10, v9, v7
	v_fma_f32 v13, -v11, v9, v7
	v_cmp_ge_f32_e64 s[8:9], 0, v12
	v_cndmask_b32_e64 v9, v9, v10, s[8:9]
	v_cmp_lt_f32_e64 s[8:9], 0, v13
	v_cndmask_b32_e64 v9, v9, v11, s[8:9]
	v_mul_f32_e32 v10, 0x37800000, v9
	v_cndmask_b32_e32 v9, v9, v10, vcc
	v_cmp_class_f32_e32 vcc, v7, v4
	v_cndmask_b32_e32 v7, v9, v7, vcc
	v_cmp_nge_f32_e32 vcc, 1.0, v7
	v_cndmask_b32_e32 v5, v8, v5, vcc
	s_cbranch_scc1 .LBB29_336
; %bb.337:
	v_mul_f32_e32 v4, 4.0, v5
	s_mov_b32 s12, 0x461c4000
	v_div_scale_f32 v5, s[8:9], s12, s12, v4
	v_rcp_f32_e32 v6, v5
	v_fma_f32 v7, -v5, v6, 1.0
	v_fmac_f32_e32 v6, v7, v6
	v_div_scale_f32 v7, vcc, v4, s12, v4
	v_mul_f32_e32 v8, v7, v6
	v_fma_f32 v9, -v5, v8, v7
	v_fmac_f32_e32 v8, v9, v6
	v_fma_f32 v5, -v5, v8, v7
	v_div_fmas_f32 v5, v5, v6, v8
	v_div_fixup_f32 v4, v5, s12, v4
.LBB29_338:
	s_or_b64 exec, exec, s[10:11]
	v_add_u32_e32 v6, 0x200, v0
	v_cmp_gt_u32_e64 s[8:9], s81, v6
                                        ; implicit-def: $vgpr5
	s_and_saveexec_b64 s[12:13], s[8:9]
	s_cbranch_execz .LBB29_342
; %bb.339:
	v_add_u32_e32 v5, s80, v6
	v_lshlrev_b32_e32 v6, 12, v5
	s_mov_b32 s10, 0x7ed55d16
	v_add3_u32 v5, v5, v6, s10
	v_lshrrev_b32_e32 v6, 19, v5
	v_xor_b32_e32 v5, v5, v6
	v_xor_b32_e32 v5, 0xc761c23c, v5
	v_lshl_add_u32 v5, v5, 5, v5
	v_mov_b32_e32 v7, 0xaccf6200
	v_add_u32_e32 v6, 0xe9f8cc1d, v5
	v_lshl_add_u32 v5, v5, 9, v7
	v_xor_b32_e32 v5, v6, v5
	v_lshlrev_b32_e32 v6, 3, v5
	s_mov_b32 s10, 0xfd7046c5
	v_add3_u32 v5, v5, v6, s10
	v_xor_b32_sdwa v5, v5, v5 dst_sel:DWORD dst_unused:UNUSED_PAD src0_sel:DWORD src1_sel:WORD_1
	v_xor_b32_e32 v5, 0xb55a4f09, v5
	v_mul_hi_u32 v6, v5, 3
	v_sub_u32_e32 v7, v5, v6
	v_lshrrev_b32_e32 v7, 1, v7
	v_add_u32_e32 v6, v7, v6
	v_lshrrev_b32_e32 v6, 30, v6
	s_brev_b32 s10, -2
	v_mul_lo_u32 v6, v6, s10
	v_sub_u32_e32 v5, v5, v6
	v_max_u32_e32 v7, 1, v5
	s_movk_i32 s14, 0x2710
	v_mov_b32_e32 v6, 0
	s_mov_b32 s15, 0xbc8f1391
	s_mov_b32 s16, 0xbc8f
	s_brev_b32 s17, 12
	s_mov_b32 s18, 0xf800000
	v_mov_b32_e32 v5, 0x260
.LBB29_340:                             ; =>This Inner Loop Header: Depth=1
	v_mul_hi_u32 v8, v7, s15
	v_lshrrev_b32_e32 v8, 15, v8
	v_mul_u32_u24_e32 v10, 0xadc8, v8
	v_sub_u32_e32 v7, v7, v10
	v_mul_u32_u24_e32 v8, 0xd47, v8
	v_mul_lo_u32 v7, v7, s16
	v_xor_b32_e32 v10, 0x7fffffff, v8
	v_sub_u32_e32 v11, 0, v8
	v_cmp_lt_u32_e32 vcc, v7, v8
	v_cndmask_b32_e32 v8, v11, v10, vcc
	v_add_u32_e32 v7, v8, v7
	v_mul_hi_u32 v10, v7, s15
	v_lshrrev_b32_e32 v10, 15, v10
	v_mul_u32_u24_e32 v11, 0xadc8, v10
	v_add_u32_e32 v8, -1, v7
	v_sub_u32_e32 v7, v7, v11
	v_mul_u32_u24_e32 v10, 0xd47, v10
	v_mul_lo_u32 v7, v7, s16
	v_xor_b32_e32 v11, 0x7fffffff, v10
	v_sub_u32_e32 v12, 0, v10
	v_cmp_lt_u32_e32 vcc, v7, v10
	v_cndmask_b32_e32 v10, v12, v11, vcc
	v_add_u32_e32 v7, v10, v7
	v_mul_hi_u32 v11, v7, s15
	v_add_u32_e32 v10, -1, v7
	v_lshrrev_b32_e32 v11, 15, v11
	v_cvt_f32_u32_e32 v10, v10
	v_mul_u32_u24_e32 v12, 0xadc8, v11
	v_cvt_f32_u32_e32 v8, v8
	v_sub_u32_e32 v7, v7, v12
	v_mul_u32_u24_e32 v11, 0xd47, v11
	v_mul_lo_u32 v7, v7, s16
	v_xor_b32_e32 v12, 0x7fffffff, v11
	v_sub_u32_e32 v13, 0, v11
	v_cmp_lt_u32_e32 vcc, v7, v11
	v_fma_f32 v10, v10, s17, 0
	v_cndmask_b32_e32 v11, v13, v12, vcc
	v_fma_f32 v8, v8, s17, 0
	v_mul_f32_e32 v10, v10, v10
	v_add_u32_e32 v7, v11, v7
	v_fmac_f32_e32 v10, v8, v8
	v_mul_hi_u32 v11, v7, s15
	v_mul_f32_e32 v12, 0x4f800000, v10
	v_lshrrev_b32_e32 v11, 15, v11
	v_cmp_gt_f32_e32 vcc, s18, v10
	v_cndmask_b32_e32 v10, v10, v12, vcc
	v_mul_u32_u24_e32 v12, 0xadc8, v11
	v_add_u32_e32 v8, -1, v7
	v_sqrt_f32_e32 v13, v10
	v_sub_u32_e32 v7, v7, v12
	v_mul_u32_u24_e32 v11, 0xd47, v11
	v_mul_lo_u32 v7, v7, s16
	v_xor_b32_e32 v12, 0x7fffffff, v11
	v_sub_u32_e32 v14, 0, v11
	v_cmp_lt_u32_e64 s[10:11], v7, v11
	v_cndmask_b32_e64 v11, v14, v12, s[10:11]
	v_add_u32_e32 v7, v11, v7
	v_add_u32_e32 v11, -1, v13
	v_add_u32_e32 v12, 1, v13
	v_add_u32_e32 v14, -1, v7
	v_fma_f32 v15, -v11, v13, v10
	v_fma_f32 v16, -v12, v13, v10
	v_cvt_f32_u32_e32 v14, v14
	v_cmp_ge_f32_e64 s[10:11], 0, v15
	v_cvt_f32_u32_e32 v8, v8
	v_cndmask_b32_e64 v11, v13, v11, s[10:11]
	v_cmp_lt_f32_e64 s[10:11], 0, v16
	v_cndmask_b32_e64 v11, v11, v12, s[10:11]
	v_mul_f32_e32 v12, 0x37800000, v11
	v_cndmask_b32_e32 v11, v11, v12, vcc
	v_fma_f32 v12, v14, s17, 0
	v_cmp_class_f32_e32 vcc, v10, v5
	v_fma_f32 v8, v8, s17, 0
	v_cndmask_b32_e32 v10, v11, v10, vcc
	v_mul_f32_e32 v11, v12, v12
	v_add_f32_e32 v9, 1.0, v6
	v_cmp_nge_f32_e32 vcc, 1.0, v10
	v_fmac_f32_e32 v11, v8, v8
	v_cndmask_b32_e32 v6, v9, v6, vcc
	v_mul_f32_e32 v8, 0x4f800000, v11
	v_cmp_gt_f32_e32 vcc, s18, v11
	v_cndmask_b32_e32 v8, v11, v8, vcc
	v_sqrt_f32_e32 v10, v8
	s_add_i32 s14, s14, -2
	v_add_f32_e32 v9, 1.0, v6
	s_cmp_lg_u32 s14, 0
	v_add_u32_e32 v11, -1, v10
	v_add_u32_e32 v12, 1, v10
	v_fma_f32 v13, -v11, v10, v8
	v_fma_f32 v14, -v12, v10, v8
	v_cmp_ge_f32_e64 s[10:11], 0, v13
	v_cndmask_b32_e64 v10, v10, v11, s[10:11]
	v_cmp_lt_f32_e64 s[10:11], 0, v14
	v_cndmask_b32_e64 v10, v10, v12, s[10:11]
	v_mul_f32_e32 v11, 0x37800000, v10
	v_cndmask_b32_e32 v10, v10, v11, vcc
	v_cmp_class_f32_e32 vcc, v8, v5
	v_cndmask_b32_e32 v8, v10, v8, vcc
	v_cmp_nge_f32_e32 vcc, 1.0, v8
	v_cndmask_b32_e32 v6, v9, v6, vcc
	s_cbranch_scc1 .LBB29_340
; %bb.341:
	v_mul_f32_e32 v5, 4.0, v6
	s_mov_b32 s14, 0x461c4000
	v_div_scale_f32 v6, s[10:11], s14, s14, v5
	v_rcp_f32_e32 v7, v6
	v_fma_f32 v8, -v6, v7, 1.0
	v_fmac_f32_e32 v7, v8, v7
	v_div_scale_f32 v8, vcc, v5, s14, v5
	v_mul_f32_e32 v9, v8, v7
	v_fma_f32 v10, -v6, v9, v8
	v_fmac_f32_e32 v9, v10, v7
	v_fma_f32 v6, -v6, v9, v8
	v_div_fmas_f32 v6, v6, v7, v9
	v_div_fixup_f32 v5, v6, s14, v5
.LBB29_342:
	s_or_b64 exec, exec, s[12:13]
	v_add_u32_e32 v7, 0x280, v0
	v_cmp_gt_u32_e64 s[10:11], s81, v7
                                        ; implicit-def: $vgpr6
	s_and_saveexec_b64 s[14:15], s[10:11]
	s_cbranch_execz .LBB29_346
; %bb.343:
	v_add_u32_e32 v6, s80, v7
	v_lshlrev_b32_e32 v7, 12, v6
	s_mov_b32 s12, 0x7ed55d16
	v_add3_u32 v6, v6, v7, s12
	v_lshrrev_b32_e32 v7, 19, v6
	v_xor_b32_e32 v6, v6, v7
	v_xor_b32_e32 v6, 0xc761c23c, v6
	v_lshl_add_u32 v6, v6, 5, v6
	v_mov_b32_e32 v8, 0xaccf6200
	v_add_u32_e32 v7, 0xe9f8cc1d, v6
	v_lshl_add_u32 v6, v6, 9, v8
	v_xor_b32_e32 v6, v7, v6
	v_lshlrev_b32_e32 v7, 3, v6
	s_mov_b32 s12, 0xfd7046c5
	v_add3_u32 v6, v6, v7, s12
	v_xor_b32_sdwa v6, v6, v6 dst_sel:DWORD dst_unused:UNUSED_PAD src0_sel:DWORD src1_sel:WORD_1
	v_xor_b32_e32 v6, 0xb55a4f09, v6
	v_mul_hi_u32 v7, v6, 3
	v_sub_u32_e32 v8, v6, v7
	v_lshrrev_b32_e32 v8, 1, v8
	v_add_u32_e32 v7, v8, v7
	v_lshrrev_b32_e32 v7, 30, v7
	s_brev_b32 s12, -2
	v_mul_lo_u32 v7, v7, s12
	v_sub_u32_e32 v6, v6, v7
	v_max_u32_e32 v8, 1, v6
	s_movk_i32 s16, 0x2710
	v_mov_b32_e32 v7, 0
	s_mov_b32 s17, 0xbc8f1391
	s_mov_b32 s18, 0xbc8f
	s_brev_b32 s19, 12
	s_mov_b32 s20, 0xf800000
	v_mov_b32_e32 v6, 0x260
.LBB29_344:                             ; =>This Inner Loop Header: Depth=1
	v_mul_hi_u32 v9, v8, s17
	v_lshrrev_b32_e32 v9, 15, v9
	v_mul_u32_u24_e32 v11, 0xadc8, v9
	v_sub_u32_e32 v8, v8, v11
	v_mul_u32_u24_e32 v9, 0xd47, v9
	v_mul_lo_u32 v8, v8, s18
	v_xor_b32_e32 v11, 0x7fffffff, v9
	v_sub_u32_e32 v12, 0, v9
	v_cmp_lt_u32_e32 vcc, v8, v9
	v_cndmask_b32_e32 v9, v12, v11, vcc
	v_add_u32_e32 v8, v9, v8
	v_mul_hi_u32 v11, v8, s17
	v_lshrrev_b32_e32 v11, 15, v11
	v_mul_u32_u24_e32 v12, 0xadc8, v11
	v_add_u32_e32 v9, -1, v8
	v_sub_u32_e32 v8, v8, v12
	v_mul_u32_u24_e32 v11, 0xd47, v11
	v_mul_lo_u32 v8, v8, s18
	v_xor_b32_e32 v12, 0x7fffffff, v11
	v_sub_u32_e32 v13, 0, v11
	v_cmp_lt_u32_e32 vcc, v8, v11
	v_cndmask_b32_e32 v11, v13, v12, vcc
	v_add_u32_e32 v8, v11, v8
	v_mul_hi_u32 v12, v8, s17
	v_add_u32_e32 v11, -1, v8
	v_lshrrev_b32_e32 v12, 15, v12
	v_cvt_f32_u32_e32 v11, v11
	v_mul_u32_u24_e32 v13, 0xadc8, v12
	v_cvt_f32_u32_e32 v9, v9
	v_sub_u32_e32 v8, v8, v13
	v_mul_u32_u24_e32 v12, 0xd47, v12
	v_mul_lo_u32 v8, v8, s18
	v_xor_b32_e32 v13, 0x7fffffff, v12
	v_sub_u32_e32 v14, 0, v12
	v_cmp_lt_u32_e32 vcc, v8, v12
	v_fma_f32 v11, v11, s19, 0
	v_cndmask_b32_e32 v12, v14, v13, vcc
	v_fma_f32 v9, v9, s19, 0
	v_mul_f32_e32 v11, v11, v11
	v_add_u32_e32 v8, v12, v8
	v_fmac_f32_e32 v11, v9, v9
	v_mul_hi_u32 v12, v8, s17
	v_mul_f32_e32 v13, 0x4f800000, v11
	v_lshrrev_b32_e32 v12, 15, v12
	v_cmp_gt_f32_e32 vcc, s20, v11
	v_cndmask_b32_e32 v11, v11, v13, vcc
	v_mul_u32_u24_e32 v13, 0xadc8, v12
	v_add_u32_e32 v9, -1, v8
	v_sqrt_f32_e32 v14, v11
	v_sub_u32_e32 v8, v8, v13
	v_mul_u32_u24_e32 v12, 0xd47, v12
	v_mul_lo_u32 v8, v8, s18
	v_xor_b32_e32 v13, 0x7fffffff, v12
	v_sub_u32_e32 v15, 0, v12
	v_cmp_lt_u32_e64 s[12:13], v8, v12
	v_cndmask_b32_e64 v12, v15, v13, s[12:13]
	v_add_u32_e32 v8, v12, v8
	v_add_u32_e32 v12, -1, v14
	v_add_u32_e32 v13, 1, v14
	v_add_u32_e32 v15, -1, v8
	v_fma_f32 v16, -v12, v14, v11
	v_fma_f32 v17, -v13, v14, v11
	v_cvt_f32_u32_e32 v15, v15
	v_cmp_ge_f32_e64 s[12:13], 0, v16
	v_cvt_f32_u32_e32 v9, v9
	v_cndmask_b32_e64 v12, v14, v12, s[12:13]
	v_cmp_lt_f32_e64 s[12:13], 0, v17
	v_cndmask_b32_e64 v12, v12, v13, s[12:13]
	v_mul_f32_e32 v13, 0x37800000, v12
	v_cndmask_b32_e32 v12, v12, v13, vcc
	v_fma_f32 v13, v15, s19, 0
	v_cmp_class_f32_e32 vcc, v11, v6
	v_fma_f32 v9, v9, s19, 0
	v_cndmask_b32_e32 v11, v12, v11, vcc
	v_mul_f32_e32 v12, v13, v13
	v_add_f32_e32 v10, 1.0, v7
	v_cmp_nge_f32_e32 vcc, 1.0, v11
	v_fmac_f32_e32 v12, v9, v9
	v_cndmask_b32_e32 v7, v10, v7, vcc
	v_mul_f32_e32 v9, 0x4f800000, v12
	v_cmp_gt_f32_e32 vcc, s20, v12
	v_cndmask_b32_e32 v9, v12, v9, vcc
	v_sqrt_f32_e32 v11, v9
	s_add_i32 s16, s16, -2
	v_add_f32_e32 v10, 1.0, v7
	s_cmp_lg_u32 s16, 0
	v_add_u32_e32 v12, -1, v11
	v_add_u32_e32 v13, 1, v11
	v_fma_f32 v14, -v12, v11, v9
	v_fma_f32 v15, -v13, v11, v9
	v_cmp_ge_f32_e64 s[12:13], 0, v14
	v_cndmask_b32_e64 v11, v11, v12, s[12:13]
	v_cmp_lt_f32_e64 s[12:13], 0, v15
	v_cndmask_b32_e64 v11, v11, v13, s[12:13]
	v_mul_f32_e32 v12, 0x37800000, v11
	v_cndmask_b32_e32 v11, v11, v12, vcc
	v_cmp_class_f32_e32 vcc, v9, v6
	v_cndmask_b32_e32 v9, v11, v9, vcc
	v_cmp_nge_f32_e32 vcc, 1.0, v9
	v_cndmask_b32_e32 v7, v10, v7, vcc
	s_cbranch_scc1 .LBB29_344
; %bb.345:
	v_mul_f32_e32 v6, 4.0, v7
	s_mov_b32 s16, 0x461c4000
	v_div_scale_f32 v7, s[12:13], s16, s16, v6
	v_rcp_f32_e32 v8, v7
	v_fma_f32 v9, -v7, v8, 1.0
	v_fmac_f32_e32 v8, v9, v8
	v_div_scale_f32 v9, vcc, v6, s16, v6
	v_mul_f32_e32 v10, v9, v8
	v_fma_f32 v11, -v7, v10, v9
	v_fmac_f32_e32 v10, v11, v8
	v_fma_f32 v7, -v7, v10, v9
	v_div_fmas_f32 v7, v7, v8, v10
	v_div_fixup_f32 v6, v7, s16, v6
.LBB29_346:
	s_or_b64 exec, exec, s[14:15]
	v_add_u32_e32 v8, 0x300, v0
	v_cmp_gt_u32_e64 s[12:13], s81, v8
                                        ; implicit-def: $vgpr7
	s_and_saveexec_b64 s[16:17], s[12:13]
	s_cbranch_execz .LBB29_350
; %bb.347:
	v_add_u32_e32 v7, s80, v8
	v_lshlrev_b32_e32 v8, 12, v7
	s_mov_b32 s14, 0x7ed55d16
	v_add3_u32 v7, v7, v8, s14
	v_lshrrev_b32_e32 v8, 19, v7
	v_xor_b32_e32 v7, v7, v8
	v_xor_b32_e32 v7, 0xc761c23c, v7
	v_lshl_add_u32 v7, v7, 5, v7
	v_mov_b32_e32 v9, 0xaccf6200
	v_add_u32_e32 v8, 0xe9f8cc1d, v7
	v_lshl_add_u32 v7, v7, 9, v9
	v_xor_b32_e32 v7, v8, v7
	v_lshlrev_b32_e32 v8, 3, v7
	s_mov_b32 s14, 0xfd7046c5
	v_add3_u32 v7, v7, v8, s14
	v_xor_b32_sdwa v7, v7, v7 dst_sel:DWORD dst_unused:UNUSED_PAD src0_sel:DWORD src1_sel:WORD_1
	v_xor_b32_e32 v7, 0xb55a4f09, v7
	v_mul_hi_u32 v8, v7, 3
	v_sub_u32_e32 v9, v7, v8
	v_lshrrev_b32_e32 v9, 1, v9
	v_add_u32_e32 v8, v9, v8
	v_lshrrev_b32_e32 v8, 30, v8
	s_brev_b32 s14, -2
	v_mul_lo_u32 v8, v8, s14
	v_sub_u32_e32 v7, v7, v8
	v_max_u32_e32 v9, 1, v7
	s_movk_i32 s18, 0x2710
	v_mov_b32_e32 v8, 0
	s_mov_b32 s19, 0xbc8f1391
	s_mov_b32 s20, 0xbc8f
	s_brev_b32 s21, 12
	s_mov_b32 s22, 0xf800000
	v_mov_b32_e32 v7, 0x260
.LBB29_348:                             ; =>This Inner Loop Header: Depth=1
	v_mul_hi_u32 v10, v9, s19
	v_lshrrev_b32_e32 v10, 15, v10
	v_mul_u32_u24_e32 v12, 0xadc8, v10
	v_sub_u32_e32 v9, v9, v12
	v_mul_u32_u24_e32 v10, 0xd47, v10
	v_mul_lo_u32 v9, v9, s20
	v_xor_b32_e32 v12, 0x7fffffff, v10
	v_sub_u32_e32 v13, 0, v10
	v_cmp_lt_u32_e32 vcc, v9, v10
	v_cndmask_b32_e32 v10, v13, v12, vcc
	v_add_u32_e32 v9, v10, v9
	v_mul_hi_u32 v12, v9, s19
	v_lshrrev_b32_e32 v12, 15, v12
	v_mul_u32_u24_e32 v13, 0xadc8, v12
	v_add_u32_e32 v10, -1, v9
	v_sub_u32_e32 v9, v9, v13
	v_mul_u32_u24_e32 v12, 0xd47, v12
	v_mul_lo_u32 v9, v9, s20
	v_xor_b32_e32 v13, 0x7fffffff, v12
	v_sub_u32_e32 v14, 0, v12
	v_cmp_lt_u32_e32 vcc, v9, v12
	v_cndmask_b32_e32 v12, v14, v13, vcc
	v_add_u32_e32 v9, v12, v9
	v_mul_hi_u32 v13, v9, s19
	v_add_u32_e32 v12, -1, v9
	v_lshrrev_b32_e32 v13, 15, v13
	v_cvt_f32_u32_e32 v12, v12
	v_mul_u32_u24_e32 v14, 0xadc8, v13
	v_cvt_f32_u32_e32 v10, v10
	v_sub_u32_e32 v9, v9, v14
	v_mul_u32_u24_e32 v13, 0xd47, v13
	v_mul_lo_u32 v9, v9, s20
	v_xor_b32_e32 v14, 0x7fffffff, v13
	v_sub_u32_e32 v15, 0, v13
	v_cmp_lt_u32_e32 vcc, v9, v13
	v_fma_f32 v12, v12, s21, 0
	v_cndmask_b32_e32 v13, v15, v14, vcc
	v_fma_f32 v10, v10, s21, 0
	v_mul_f32_e32 v12, v12, v12
	v_add_u32_e32 v9, v13, v9
	v_fmac_f32_e32 v12, v10, v10
	v_mul_hi_u32 v13, v9, s19
	v_mul_f32_e32 v14, 0x4f800000, v12
	v_lshrrev_b32_e32 v13, 15, v13
	v_cmp_gt_f32_e32 vcc, s22, v12
	v_cndmask_b32_e32 v12, v12, v14, vcc
	v_mul_u32_u24_e32 v14, 0xadc8, v13
	v_add_u32_e32 v10, -1, v9
	v_sqrt_f32_e32 v15, v12
	v_sub_u32_e32 v9, v9, v14
	v_mul_u32_u24_e32 v13, 0xd47, v13
	v_mul_lo_u32 v9, v9, s20
	v_xor_b32_e32 v14, 0x7fffffff, v13
	v_sub_u32_e32 v16, 0, v13
	v_cmp_lt_u32_e64 s[14:15], v9, v13
	v_cndmask_b32_e64 v13, v16, v14, s[14:15]
	v_add_u32_e32 v9, v13, v9
	v_add_u32_e32 v13, -1, v15
	v_add_u32_e32 v14, 1, v15
	v_add_u32_e32 v16, -1, v9
	v_fma_f32 v17, -v13, v15, v12
	v_fma_f32 v18, -v14, v15, v12
	v_cvt_f32_u32_e32 v16, v16
	v_cmp_ge_f32_e64 s[14:15], 0, v17
	v_cvt_f32_u32_e32 v10, v10
	v_cndmask_b32_e64 v13, v15, v13, s[14:15]
	v_cmp_lt_f32_e64 s[14:15], 0, v18
	v_cndmask_b32_e64 v13, v13, v14, s[14:15]
	v_mul_f32_e32 v14, 0x37800000, v13
	v_cndmask_b32_e32 v13, v13, v14, vcc
	v_fma_f32 v14, v16, s21, 0
	v_cmp_class_f32_e32 vcc, v12, v7
	v_fma_f32 v10, v10, s21, 0
	v_cndmask_b32_e32 v12, v13, v12, vcc
	v_mul_f32_e32 v13, v14, v14
	v_add_f32_e32 v11, 1.0, v8
	v_cmp_nge_f32_e32 vcc, 1.0, v12
	v_fmac_f32_e32 v13, v10, v10
	v_cndmask_b32_e32 v8, v11, v8, vcc
	v_mul_f32_e32 v10, 0x4f800000, v13
	v_cmp_gt_f32_e32 vcc, s22, v13
	v_cndmask_b32_e32 v10, v13, v10, vcc
	v_sqrt_f32_e32 v12, v10
	s_add_i32 s18, s18, -2
	v_add_f32_e32 v11, 1.0, v8
	s_cmp_lg_u32 s18, 0
	v_add_u32_e32 v13, -1, v12
	v_add_u32_e32 v14, 1, v12
	v_fma_f32 v15, -v13, v12, v10
	v_fma_f32 v16, -v14, v12, v10
	v_cmp_ge_f32_e64 s[14:15], 0, v15
	v_cndmask_b32_e64 v12, v12, v13, s[14:15]
	v_cmp_lt_f32_e64 s[14:15], 0, v16
	v_cndmask_b32_e64 v12, v12, v14, s[14:15]
	v_mul_f32_e32 v13, 0x37800000, v12
	v_cndmask_b32_e32 v12, v12, v13, vcc
	v_cmp_class_f32_e32 vcc, v10, v7
	v_cndmask_b32_e32 v10, v12, v10, vcc
	v_cmp_nge_f32_e32 vcc, 1.0, v10
	v_cndmask_b32_e32 v8, v11, v8, vcc
	s_cbranch_scc1 .LBB29_348
; %bb.349:
	v_mul_f32_e32 v7, 4.0, v8
	s_mov_b32 s18, 0x461c4000
	v_div_scale_f32 v8, s[14:15], s18, s18, v7
	v_rcp_f32_e32 v9, v8
	v_fma_f32 v10, -v8, v9, 1.0
	v_fmac_f32_e32 v9, v10, v9
	v_div_scale_f32 v10, vcc, v7, s18, v7
	v_mul_f32_e32 v11, v10, v9
	v_fma_f32 v12, -v8, v11, v10
	v_fmac_f32_e32 v11, v12, v9
	v_fma_f32 v8, -v8, v11, v10
	v_div_fmas_f32 v8, v8, v9, v11
	v_div_fixup_f32 v7, v8, s18, v7
.LBB29_350:
	s_or_b64 exec, exec, s[16:17]
	v_add_u32_e32 v9, 0x380, v0
	v_cmp_gt_u32_e64 s[14:15], s81, v9
                                        ; implicit-def: $vgpr8
	s_and_saveexec_b64 s[18:19], s[14:15]
	s_cbranch_execz .LBB29_354
; %bb.351:
	v_add_u32_e32 v8, s80, v9
	v_lshlrev_b32_e32 v9, 12, v8
	s_mov_b32 s16, 0x7ed55d16
	v_add3_u32 v8, v8, v9, s16
	v_lshrrev_b32_e32 v9, 19, v8
	v_xor_b32_e32 v8, v8, v9
	v_xor_b32_e32 v8, 0xc761c23c, v8
	v_lshl_add_u32 v8, v8, 5, v8
	v_mov_b32_e32 v10, 0xaccf6200
	v_add_u32_e32 v9, 0xe9f8cc1d, v8
	v_lshl_add_u32 v8, v8, 9, v10
	v_xor_b32_e32 v8, v9, v8
	v_lshlrev_b32_e32 v9, 3, v8
	s_mov_b32 s16, 0xfd7046c5
	v_add3_u32 v8, v8, v9, s16
	v_xor_b32_sdwa v8, v8, v8 dst_sel:DWORD dst_unused:UNUSED_PAD src0_sel:DWORD src1_sel:WORD_1
	v_xor_b32_e32 v8, 0xb55a4f09, v8
	v_mul_hi_u32 v9, v8, 3
	v_sub_u32_e32 v10, v8, v9
	v_lshrrev_b32_e32 v10, 1, v10
	v_add_u32_e32 v9, v10, v9
	v_lshrrev_b32_e32 v9, 30, v9
	s_brev_b32 s16, -2
	v_mul_lo_u32 v9, v9, s16
	v_sub_u32_e32 v8, v8, v9
	v_max_u32_e32 v10, 1, v8
	s_movk_i32 s20, 0x2710
	v_mov_b32_e32 v9, 0
	s_mov_b32 s21, 0xbc8f1391
	s_mov_b32 s22, 0xbc8f
	s_brev_b32 s23, 12
	s_mov_b32 s24, 0xf800000
	v_mov_b32_e32 v8, 0x260
.LBB29_352:                             ; =>This Inner Loop Header: Depth=1
	v_mul_hi_u32 v11, v10, s21
	v_lshrrev_b32_e32 v11, 15, v11
	v_mul_u32_u24_e32 v13, 0xadc8, v11
	v_sub_u32_e32 v10, v10, v13
	v_mul_u32_u24_e32 v11, 0xd47, v11
	v_mul_lo_u32 v10, v10, s22
	v_xor_b32_e32 v13, 0x7fffffff, v11
	v_sub_u32_e32 v14, 0, v11
	v_cmp_lt_u32_e32 vcc, v10, v11
	v_cndmask_b32_e32 v11, v14, v13, vcc
	v_add_u32_e32 v10, v11, v10
	v_mul_hi_u32 v13, v10, s21
	v_lshrrev_b32_e32 v13, 15, v13
	v_mul_u32_u24_e32 v14, 0xadc8, v13
	v_add_u32_e32 v11, -1, v10
	v_sub_u32_e32 v10, v10, v14
	v_mul_u32_u24_e32 v13, 0xd47, v13
	v_mul_lo_u32 v10, v10, s22
	v_xor_b32_e32 v14, 0x7fffffff, v13
	v_sub_u32_e32 v15, 0, v13
	v_cmp_lt_u32_e32 vcc, v10, v13
	v_cndmask_b32_e32 v13, v15, v14, vcc
	v_add_u32_e32 v10, v13, v10
	v_mul_hi_u32 v14, v10, s21
	v_add_u32_e32 v13, -1, v10
	v_lshrrev_b32_e32 v14, 15, v14
	v_cvt_f32_u32_e32 v13, v13
	v_mul_u32_u24_e32 v15, 0xadc8, v14
	v_cvt_f32_u32_e32 v11, v11
	v_sub_u32_e32 v10, v10, v15
	v_mul_u32_u24_e32 v14, 0xd47, v14
	v_mul_lo_u32 v10, v10, s22
	v_xor_b32_e32 v15, 0x7fffffff, v14
	v_sub_u32_e32 v16, 0, v14
	v_cmp_lt_u32_e32 vcc, v10, v14
	v_fma_f32 v13, v13, s23, 0
	v_cndmask_b32_e32 v14, v16, v15, vcc
	v_fma_f32 v11, v11, s23, 0
	v_mul_f32_e32 v13, v13, v13
	v_add_u32_e32 v10, v14, v10
	v_fmac_f32_e32 v13, v11, v11
	v_mul_hi_u32 v14, v10, s21
	v_mul_f32_e32 v15, 0x4f800000, v13
	v_lshrrev_b32_e32 v14, 15, v14
	v_cmp_gt_f32_e32 vcc, s24, v13
	v_cndmask_b32_e32 v13, v13, v15, vcc
	v_mul_u32_u24_e32 v15, 0xadc8, v14
	v_add_u32_e32 v11, -1, v10
	v_sqrt_f32_e32 v16, v13
	v_sub_u32_e32 v10, v10, v15
	v_mul_u32_u24_e32 v14, 0xd47, v14
	v_mul_lo_u32 v10, v10, s22
	v_xor_b32_e32 v15, 0x7fffffff, v14
	v_sub_u32_e32 v17, 0, v14
	v_cmp_lt_u32_e64 s[16:17], v10, v14
	v_cndmask_b32_e64 v14, v17, v15, s[16:17]
	v_add_u32_e32 v10, v14, v10
	v_add_u32_e32 v14, -1, v16
	v_add_u32_e32 v15, 1, v16
	v_add_u32_e32 v17, -1, v10
	v_fma_f32 v18, -v14, v16, v13
	v_fma_f32 v19, -v15, v16, v13
	v_cvt_f32_u32_e32 v17, v17
	v_cmp_ge_f32_e64 s[16:17], 0, v18
	v_cvt_f32_u32_e32 v11, v11
	v_cndmask_b32_e64 v14, v16, v14, s[16:17]
	v_cmp_lt_f32_e64 s[16:17], 0, v19
	v_cndmask_b32_e64 v14, v14, v15, s[16:17]
	v_mul_f32_e32 v15, 0x37800000, v14
	v_cndmask_b32_e32 v14, v14, v15, vcc
	v_fma_f32 v15, v17, s23, 0
	v_cmp_class_f32_e32 vcc, v13, v8
	v_fma_f32 v11, v11, s23, 0
	v_cndmask_b32_e32 v13, v14, v13, vcc
	v_mul_f32_e32 v14, v15, v15
	v_add_f32_e32 v12, 1.0, v9
	v_cmp_nge_f32_e32 vcc, 1.0, v13
	v_fmac_f32_e32 v14, v11, v11
	v_cndmask_b32_e32 v9, v12, v9, vcc
	v_mul_f32_e32 v11, 0x4f800000, v14
	v_cmp_gt_f32_e32 vcc, s24, v14
	v_cndmask_b32_e32 v11, v14, v11, vcc
	v_sqrt_f32_e32 v13, v11
	s_add_i32 s20, s20, -2
	v_add_f32_e32 v12, 1.0, v9
	s_cmp_lg_u32 s20, 0
	v_add_u32_e32 v14, -1, v13
	v_add_u32_e32 v15, 1, v13
	v_fma_f32 v16, -v14, v13, v11
	v_fma_f32 v17, -v15, v13, v11
	v_cmp_ge_f32_e64 s[16:17], 0, v16
	v_cndmask_b32_e64 v13, v13, v14, s[16:17]
	v_cmp_lt_f32_e64 s[16:17], 0, v17
	v_cndmask_b32_e64 v13, v13, v15, s[16:17]
	v_mul_f32_e32 v14, 0x37800000, v13
	v_cndmask_b32_e32 v13, v13, v14, vcc
	v_cmp_class_f32_e32 vcc, v11, v8
	v_cndmask_b32_e32 v11, v13, v11, vcc
	v_cmp_nge_f32_e32 vcc, 1.0, v11
	v_cndmask_b32_e32 v9, v12, v9, vcc
	s_cbranch_scc1 .LBB29_352
; %bb.353:
	v_mul_f32_e32 v8, 4.0, v9
	s_mov_b32 s20, 0x461c4000
	v_div_scale_f32 v9, s[16:17], s20, s20, v8
	v_rcp_f32_e32 v10, v9
	v_fma_f32 v11, -v9, v10, 1.0
	v_fmac_f32_e32 v10, v11, v10
	v_div_scale_f32 v11, vcc, v8, s20, v8
	v_mul_f32_e32 v12, v11, v10
	v_fma_f32 v13, -v9, v12, v11
	v_fmac_f32_e32 v12, v13, v10
	v_fma_f32 v9, -v9, v12, v11
	v_div_fmas_f32 v9, v9, v10, v12
	v_div_fixup_f32 v8, v9, s20, v8
.LBB29_354:
	s_or_b64 exec, exec, s[18:19]
	v_or_b32_e32 v10, 0x400, v0
	v_cmp_gt_u32_e64 s[16:17], s81, v10
                                        ; implicit-def: $vgpr9
	s_and_saveexec_b64 s[20:21], s[16:17]
	s_cbranch_execz .LBB29_358
; %bb.355:
	v_add_u32_e32 v9, s80, v10
	v_lshlrev_b32_e32 v10, 12, v9
	s_mov_b32 s18, 0x7ed55d16
	v_add3_u32 v9, v9, v10, s18
	v_lshrrev_b32_e32 v10, 19, v9
	v_xor_b32_e32 v9, v9, v10
	v_xor_b32_e32 v9, 0xc761c23c, v9
	v_lshl_add_u32 v9, v9, 5, v9
	v_mov_b32_e32 v11, 0xaccf6200
	v_add_u32_e32 v10, 0xe9f8cc1d, v9
	v_lshl_add_u32 v9, v9, 9, v11
	v_xor_b32_e32 v9, v10, v9
	v_lshlrev_b32_e32 v10, 3, v9
	s_mov_b32 s18, 0xfd7046c5
	v_add3_u32 v9, v9, v10, s18
	v_xor_b32_sdwa v9, v9, v9 dst_sel:DWORD dst_unused:UNUSED_PAD src0_sel:DWORD src1_sel:WORD_1
	v_xor_b32_e32 v9, 0xb55a4f09, v9
	v_mul_hi_u32 v10, v9, 3
	v_sub_u32_e32 v11, v9, v10
	v_lshrrev_b32_e32 v11, 1, v11
	v_add_u32_e32 v10, v11, v10
	v_lshrrev_b32_e32 v10, 30, v10
	s_brev_b32 s18, -2
	v_mul_lo_u32 v10, v10, s18
	v_sub_u32_e32 v9, v9, v10
	v_max_u32_e32 v11, 1, v9
	s_movk_i32 s22, 0x2710
	v_mov_b32_e32 v10, 0
	s_mov_b32 s23, 0xbc8f1391
	s_mov_b32 s24, 0xbc8f
	s_brev_b32 s25, 12
	s_mov_b32 s26, 0xf800000
	v_mov_b32_e32 v9, 0x260
.LBB29_356:                             ; =>This Inner Loop Header: Depth=1
	v_mul_hi_u32 v12, v11, s23
	v_lshrrev_b32_e32 v12, 15, v12
	v_mul_u32_u24_e32 v14, 0xadc8, v12
	v_sub_u32_e32 v11, v11, v14
	v_mul_u32_u24_e32 v12, 0xd47, v12
	v_mul_lo_u32 v11, v11, s24
	v_xor_b32_e32 v14, 0x7fffffff, v12
	v_sub_u32_e32 v15, 0, v12
	v_cmp_lt_u32_e32 vcc, v11, v12
	v_cndmask_b32_e32 v12, v15, v14, vcc
	v_add_u32_e32 v11, v12, v11
	v_mul_hi_u32 v14, v11, s23
	v_lshrrev_b32_e32 v14, 15, v14
	v_mul_u32_u24_e32 v15, 0xadc8, v14
	v_add_u32_e32 v12, -1, v11
	v_sub_u32_e32 v11, v11, v15
	v_mul_u32_u24_e32 v14, 0xd47, v14
	v_mul_lo_u32 v11, v11, s24
	v_xor_b32_e32 v15, 0x7fffffff, v14
	v_sub_u32_e32 v16, 0, v14
	v_cmp_lt_u32_e32 vcc, v11, v14
	v_cndmask_b32_e32 v14, v16, v15, vcc
	v_add_u32_e32 v11, v14, v11
	v_mul_hi_u32 v15, v11, s23
	v_add_u32_e32 v14, -1, v11
	v_lshrrev_b32_e32 v15, 15, v15
	v_cvt_f32_u32_e32 v14, v14
	v_mul_u32_u24_e32 v16, 0xadc8, v15
	v_cvt_f32_u32_e32 v12, v12
	v_sub_u32_e32 v11, v11, v16
	v_mul_u32_u24_e32 v15, 0xd47, v15
	v_mul_lo_u32 v11, v11, s24
	v_xor_b32_e32 v16, 0x7fffffff, v15
	v_sub_u32_e32 v17, 0, v15
	v_cmp_lt_u32_e32 vcc, v11, v15
	v_fma_f32 v14, v14, s25, 0
	v_cndmask_b32_e32 v15, v17, v16, vcc
	v_fma_f32 v12, v12, s25, 0
	v_mul_f32_e32 v14, v14, v14
	v_add_u32_e32 v11, v15, v11
	v_fmac_f32_e32 v14, v12, v12
	v_mul_hi_u32 v15, v11, s23
	v_mul_f32_e32 v16, 0x4f800000, v14
	v_lshrrev_b32_e32 v15, 15, v15
	v_cmp_gt_f32_e32 vcc, s26, v14
	v_cndmask_b32_e32 v14, v14, v16, vcc
	v_mul_u32_u24_e32 v16, 0xadc8, v15
	v_add_u32_e32 v12, -1, v11
	v_sqrt_f32_e32 v17, v14
	v_sub_u32_e32 v11, v11, v16
	v_mul_u32_u24_e32 v15, 0xd47, v15
	v_mul_lo_u32 v11, v11, s24
	v_xor_b32_e32 v16, 0x7fffffff, v15
	v_sub_u32_e32 v18, 0, v15
	v_cmp_lt_u32_e64 s[18:19], v11, v15
	v_cndmask_b32_e64 v15, v18, v16, s[18:19]
	v_add_u32_e32 v11, v15, v11
	v_add_u32_e32 v15, -1, v17
	v_add_u32_e32 v16, 1, v17
	v_add_u32_e32 v18, -1, v11
	v_fma_f32 v19, -v15, v17, v14
	v_fma_f32 v20, -v16, v17, v14
	v_cvt_f32_u32_e32 v18, v18
	v_cmp_ge_f32_e64 s[18:19], 0, v19
	v_cvt_f32_u32_e32 v12, v12
	v_cndmask_b32_e64 v15, v17, v15, s[18:19]
	v_cmp_lt_f32_e64 s[18:19], 0, v20
	v_cndmask_b32_e64 v15, v15, v16, s[18:19]
	v_mul_f32_e32 v16, 0x37800000, v15
	v_cndmask_b32_e32 v15, v15, v16, vcc
	v_fma_f32 v16, v18, s25, 0
	v_cmp_class_f32_e32 vcc, v14, v9
	v_fma_f32 v12, v12, s25, 0
	v_cndmask_b32_e32 v14, v15, v14, vcc
	v_mul_f32_e32 v15, v16, v16
	v_add_f32_e32 v13, 1.0, v10
	v_cmp_nge_f32_e32 vcc, 1.0, v14
	v_fmac_f32_e32 v15, v12, v12
	v_cndmask_b32_e32 v10, v13, v10, vcc
	v_mul_f32_e32 v12, 0x4f800000, v15
	v_cmp_gt_f32_e32 vcc, s26, v15
	v_cndmask_b32_e32 v12, v15, v12, vcc
	v_sqrt_f32_e32 v14, v12
	s_add_i32 s22, s22, -2
	v_add_f32_e32 v13, 1.0, v10
	s_cmp_lg_u32 s22, 0
	v_add_u32_e32 v15, -1, v14
	v_add_u32_e32 v16, 1, v14
	v_fma_f32 v17, -v15, v14, v12
	v_fma_f32 v18, -v16, v14, v12
	v_cmp_ge_f32_e64 s[18:19], 0, v17
	v_cndmask_b32_e64 v14, v14, v15, s[18:19]
	v_cmp_lt_f32_e64 s[18:19], 0, v18
	v_cndmask_b32_e64 v14, v14, v16, s[18:19]
	v_mul_f32_e32 v15, 0x37800000, v14
	v_cndmask_b32_e32 v14, v14, v15, vcc
	v_cmp_class_f32_e32 vcc, v12, v9
	v_cndmask_b32_e32 v12, v14, v12, vcc
	v_cmp_nge_f32_e32 vcc, 1.0, v12
	v_cndmask_b32_e32 v10, v13, v10, vcc
	s_cbranch_scc1 .LBB29_356
; %bb.357:
	v_mul_f32_e32 v9, 4.0, v10
	s_mov_b32 s22, 0x461c4000
	v_div_scale_f32 v10, s[18:19], s22, s22, v9
	v_rcp_f32_e32 v11, v10
	v_fma_f32 v12, -v10, v11, 1.0
	v_fmac_f32_e32 v11, v12, v11
	v_div_scale_f32 v12, vcc, v9, s22, v9
	v_mul_f32_e32 v13, v12, v11
	v_fma_f32 v14, -v10, v13, v12
	v_fmac_f32_e32 v13, v14, v11
	v_fma_f32 v10, -v10, v13, v12
	v_div_fmas_f32 v10, v10, v11, v13
	v_div_fixup_f32 v9, v10, s22, v9
.LBB29_358:
	s_or_b64 exec, exec, s[20:21]
	v_add_u32_e32 v11, 0x480, v0
	v_cmp_gt_u32_e64 s[18:19], s81, v11
                                        ; implicit-def: $vgpr10
	s_and_saveexec_b64 s[22:23], s[18:19]
	s_cbranch_execz .LBB29_362
; %bb.359:
	v_add_u32_e32 v10, s80, v11
	v_lshlrev_b32_e32 v11, 12, v10
	s_mov_b32 s20, 0x7ed55d16
	v_add3_u32 v10, v10, v11, s20
	v_lshrrev_b32_e32 v11, 19, v10
	v_xor_b32_e32 v10, v10, v11
	v_xor_b32_e32 v10, 0xc761c23c, v10
	v_lshl_add_u32 v10, v10, 5, v10
	v_mov_b32_e32 v12, 0xaccf6200
	v_add_u32_e32 v11, 0xe9f8cc1d, v10
	v_lshl_add_u32 v10, v10, 9, v12
	v_xor_b32_e32 v10, v11, v10
	v_lshlrev_b32_e32 v11, 3, v10
	s_mov_b32 s20, 0xfd7046c5
	v_add3_u32 v10, v10, v11, s20
	v_xor_b32_sdwa v10, v10, v10 dst_sel:DWORD dst_unused:UNUSED_PAD src0_sel:DWORD src1_sel:WORD_1
	v_xor_b32_e32 v10, 0xb55a4f09, v10
	v_mul_hi_u32 v11, v10, 3
	v_sub_u32_e32 v12, v10, v11
	v_lshrrev_b32_e32 v12, 1, v12
	v_add_u32_e32 v11, v12, v11
	v_lshrrev_b32_e32 v11, 30, v11
	s_brev_b32 s20, -2
	v_mul_lo_u32 v11, v11, s20
	v_sub_u32_e32 v10, v10, v11
	v_max_u32_e32 v12, 1, v10
	s_movk_i32 s24, 0x2710
	v_mov_b32_e32 v11, 0
	s_mov_b32 s25, 0xbc8f1391
	s_mov_b32 s26, 0xbc8f
	s_brev_b32 s27, 12
	s_mov_b32 s28, 0xf800000
	v_mov_b32_e32 v10, 0x260
.LBB29_360:                             ; =>This Inner Loop Header: Depth=1
	v_mul_hi_u32 v13, v12, s25
	v_lshrrev_b32_e32 v13, 15, v13
	v_mul_u32_u24_e32 v15, 0xadc8, v13
	v_sub_u32_e32 v12, v12, v15
	v_mul_u32_u24_e32 v13, 0xd47, v13
	v_mul_lo_u32 v12, v12, s26
	v_xor_b32_e32 v15, 0x7fffffff, v13
	v_sub_u32_e32 v16, 0, v13
	v_cmp_lt_u32_e32 vcc, v12, v13
	v_cndmask_b32_e32 v13, v16, v15, vcc
	v_add_u32_e32 v12, v13, v12
	v_mul_hi_u32 v15, v12, s25
	v_lshrrev_b32_e32 v15, 15, v15
	v_mul_u32_u24_e32 v16, 0xadc8, v15
	v_add_u32_e32 v13, -1, v12
	v_sub_u32_e32 v12, v12, v16
	v_mul_u32_u24_e32 v15, 0xd47, v15
	v_mul_lo_u32 v12, v12, s26
	v_xor_b32_e32 v16, 0x7fffffff, v15
	v_sub_u32_e32 v17, 0, v15
	v_cmp_lt_u32_e32 vcc, v12, v15
	v_cndmask_b32_e32 v15, v17, v16, vcc
	v_add_u32_e32 v12, v15, v12
	v_mul_hi_u32 v16, v12, s25
	v_add_u32_e32 v15, -1, v12
	v_lshrrev_b32_e32 v16, 15, v16
	v_cvt_f32_u32_e32 v15, v15
	v_mul_u32_u24_e32 v17, 0xadc8, v16
	v_cvt_f32_u32_e32 v13, v13
	v_sub_u32_e32 v12, v12, v17
	v_mul_u32_u24_e32 v16, 0xd47, v16
	v_mul_lo_u32 v12, v12, s26
	v_xor_b32_e32 v17, 0x7fffffff, v16
	v_sub_u32_e32 v18, 0, v16
	v_cmp_lt_u32_e32 vcc, v12, v16
	v_fma_f32 v15, v15, s27, 0
	v_cndmask_b32_e32 v16, v18, v17, vcc
	v_fma_f32 v13, v13, s27, 0
	v_mul_f32_e32 v15, v15, v15
	v_add_u32_e32 v12, v16, v12
	v_fmac_f32_e32 v15, v13, v13
	v_mul_hi_u32 v16, v12, s25
	v_mul_f32_e32 v17, 0x4f800000, v15
	v_lshrrev_b32_e32 v16, 15, v16
	v_cmp_gt_f32_e32 vcc, s28, v15
	v_cndmask_b32_e32 v15, v15, v17, vcc
	v_mul_u32_u24_e32 v17, 0xadc8, v16
	v_add_u32_e32 v13, -1, v12
	v_sqrt_f32_e32 v18, v15
	v_sub_u32_e32 v12, v12, v17
	v_mul_u32_u24_e32 v16, 0xd47, v16
	v_mul_lo_u32 v12, v12, s26
	v_xor_b32_e32 v17, 0x7fffffff, v16
	v_sub_u32_e32 v19, 0, v16
	v_cmp_lt_u32_e64 s[20:21], v12, v16
	v_cndmask_b32_e64 v16, v19, v17, s[20:21]
	v_add_u32_e32 v12, v16, v12
	v_add_u32_e32 v16, -1, v18
	v_add_u32_e32 v17, 1, v18
	v_add_u32_e32 v19, -1, v12
	v_fma_f32 v20, -v16, v18, v15
	v_fma_f32 v21, -v17, v18, v15
	v_cvt_f32_u32_e32 v19, v19
	v_cmp_ge_f32_e64 s[20:21], 0, v20
	v_cvt_f32_u32_e32 v13, v13
	v_cndmask_b32_e64 v16, v18, v16, s[20:21]
	v_cmp_lt_f32_e64 s[20:21], 0, v21
	v_cndmask_b32_e64 v16, v16, v17, s[20:21]
	v_mul_f32_e32 v17, 0x37800000, v16
	v_cndmask_b32_e32 v16, v16, v17, vcc
	v_fma_f32 v17, v19, s27, 0
	v_cmp_class_f32_e32 vcc, v15, v10
	v_fma_f32 v13, v13, s27, 0
	v_cndmask_b32_e32 v15, v16, v15, vcc
	v_mul_f32_e32 v16, v17, v17
	v_add_f32_e32 v14, 1.0, v11
	v_cmp_nge_f32_e32 vcc, 1.0, v15
	v_fmac_f32_e32 v16, v13, v13
	v_cndmask_b32_e32 v11, v14, v11, vcc
	v_mul_f32_e32 v13, 0x4f800000, v16
	v_cmp_gt_f32_e32 vcc, s28, v16
	v_cndmask_b32_e32 v13, v16, v13, vcc
	v_sqrt_f32_e32 v15, v13
	s_add_i32 s24, s24, -2
	v_add_f32_e32 v14, 1.0, v11
	s_cmp_lg_u32 s24, 0
	v_add_u32_e32 v16, -1, v15
	v_add_u32_e32 v17, 1, v15
	v_fma_f32 v18, -v16, v15, v13
	v_fma_f32 v19, -v17, v15, v13
	v_cmp_ge_f32_e64 s[20:21], 0, v18
	v_cndmask_b32_e64 v15, v15, v16, s[20:21]
	v_cmp_lt_f32_e64 s[20:21], 0, v19
	v_cndmask_b32_e64 v15, v15, v17, s[20:21]
	v_mul_f32_e32 v16, 0x37800000, v15
	v_cndmask_b32_e32 v15, v15, v16, vcc
	v_cmp_class_f32_e32 vcc, v13, v10
	v_cndmask_b32_e32 v13, v15, v13, vcc
	v_cmp_nge_f32_e32 vcc, 1.0, v13
	v_cndmask_b32_e32 v11, v14, v11, vcc
	s_cbranch_scc1 .LBB29_360
; %bb.361:
	v_mul_f32_e32 v10, 4.0, v11
	s_mov_b32 s24, 0x461c4000
	v_div_scale_f32 v11, s[20:21], s24, s24, v10
	v_rcp_f32_e32 v12, v11
	v_fma_f32 v13, -v11, v12, 1.0
	v_fmac_f32_e32 v12, v13, v12
	v_div_scale_f32 v13, vcc, v10, s24, v10
	v_mul_f32_e32 v14, v13, v12
	v_fma_f32 v15, -v11, v14, v13
	v_fmac_f32_e32 v14, v15, v12
	v_fma_f32 v11, -v11, v14, v13
	v_div_fmas_f32 v11, v11, v12, v14
	v_div_fixup_f32 v10, v11, s24, v10
.LBB29_362:
	s_or_b64 exec, exec, s[22:23]
	v_add_u32_e32 v12, 0x500, v0
	v_cmp_gt_u32_e64 s[20:21], s81, v12
                                        ; implicit-def: $vgpr11
	s_and_saveexec_b64 s[24:25], s[20:21]
	s_cbranch_execz .LBB29_366
; %bb.363:
	v_add_u32_e32 v11, s80, v12
	v_lshlrev_b32_e32 v12, 12, v11
	s_mov_b32 s22, 0x7ed55d16
	v_add3_u32 v11, v11, v12, s22
	v_lshrrev_b32_e32 v12, 19, v11
	v_xor_b32_e32 v11, v11, v12
	v_xor_b32_e32 v11, 0xc761c23c, v11
	v_lshl_add_u32 v11, v11, 5, v11
	v_mov_b32_e32 v13, 0xaccf6200
	v_add_u32_e32 v12, 0xe9f8cc1d, v11
	v_lshl_add_u32 v11, v11, 9, v13
	v_xor_b32_e32 v11, v12, v11
	v_lshlrev_b32_e32 v12, 3, v11
	s_mov_b32 s22, 0xfd7046c5
	v_add3_u32 v11, v11, v12, s22
	v_xor_b32_sdwa v11, v11, v11 dst_sel:DWORD dst_unused:UNUSED_PAD src0_sel:DWORD src1_sel:WORD_1
	v_xor_b32_e32 v11, 0xb55a4f09, v11
	v_mul_hi_u32 v12, v11, 3
	v_sub_u32_e32 v13, v11, v12
	v_lshrrev_b32_e32 v13, 1, v13
	v_add_u32_e32 v12, v13, v12
	v_lshrrev_b32_e32 v12, 30, v12
	s_brev_b32 s22, -2
	v_mul_lo_u32 v12, v12, s22
	v_sub_u32_e32 v11, v11, v12
	v_max_u32_e32 v13, 1, v11
	s_movk_i32 s26, 0x2710
	v_mov_b32_e32 v12, 0
	s_mov_b32 s27, 0xbc8f1391
	s_mov_b32 s28, 0xbc8f
	s_brev_b32 s29, 12
	s_mov_b32 s30, 0xf800000
	v_mov_b32_e32 v11, 0x260
.LBB29_364:                             ; =>This Inner Loop Header: Depth=1
	v_mul_hi_u32 v14, v13, s27
	v_lshrrev_b32_e32 v14, 15, v14
	v_mul_u32_u24_e32 v16, 0xadc8, v14
	v_sub_u32_e32 v13, v13, v16
	v_mul_u32_u24_e32 v14, 0xd47, v14
	v_mul_lo_u32 v13, v13, s28
	v_xor_b32_e32 v16, 0x7fffffff, v14
	v_sub_u32_e32 v17, 0, v14
	v_cmp_lt_u32_e32 vcc, v13, v14
	v_cndmask_b32_e32 v14, v17, v16, vcc
	v_add_u32_e32 v13, v14, v13
	v_mul_hi_u32 v16, v13, s27
	v_lshrrev_b32_e32 v16, 15, v16
	v_mul_u32_u24_e32 v17, 0xadc8, v16
	v_add_u32_e32 v14, -1, v13
	v_sub_u32_e32 v13, v13, v17
	v_mul_u32_u24_e32 v16, 0xd47, v16
	v_mul_lo_u32 v13, v13, s28
	v_xor_b32_e32 v17, 0x7fffffff, v16
	v_sub_u32_e32 v18, 0, v16
	v_cmp_lt_u32_e32 vcc, v13, v16
	v_cndmask_b32_e32 v16, v18, v17, vcc
	v_add_u32_e32 v13, v16, v13
	v_mul_hi_u32 v17, v13, s27
	v_add_u32_e32 v16, -1, v13
	v_lshrrev_b32_e32 v17, 15, v17
	v_cvt_f32_u32_e32 v16, v16
	v_mul_u32_u24_e32 v18, 0xadc8, v17
	v_cvt_f32_u32_e32 v14, v14
	v_sub_u32_e32 v13, v13, v18
	v_mul_u32_u24_e32 v17, 0xd47, v17
	v_mul_lo_u32 v13, v13, s28
	v_xor_b32_e32 v18, 0x7fffffff, v17
	v_sub_u32_e32 v19, 0, v17
	v_cmp_lt_u32_e32 vcc, v13, v17
	v_fma_f32 v16, v16, s29, 0
	v_cndmask_b32_e32 v17, v19, v18, vcc
	v_fma_f32 v14, v14, s29, 0
	v_mul_f32_e32 v16, v16, v16
	v_add_u32_e32 v13, v17, v13
	v_fmac_f32_e32 v16, v14, v14
	v_mul_hi_u32 v17, v13, s27
	v_mul_f32_e32 v18, 0x4f800000, v16
	v_lshrrev_b32_e32 v17, 15, v17
	v_cmp_gt_f32_e32 vcc, s30, v16
	v_cndmask_b32_e32 v16, v16, v18, vcc
	v_mul_u32_u24_e32 v18, 0xadc8, v17
	v_add_u32_e32 v14, -1, v13
	v_sqrt_f32_e32 v19, v16
	v_sub_u32_e32 v13, v13, v18
	v_mul_u32_u24_e32 v17, 0xd47, v17
	v_mul_lo_u32 v13, v13, s28
	v_xor_b32_e32 v18, 0x7fffffff, v17
	v_sub_u32_e32 v20, 0, v17
	v_cmp_lt_u32_e64 s[22:23], v13, v17
	v_cndmask_b32_e64 v17, v20, v18, s[22:23]
	v_add_u32_e32 v13, v17, v13
	v_add_u32_e32 v17, -1, v19
	v_add_u32_e32 v18, 1, v19
	v_add_u32_e32 v20, -1, v13
	v_fma_f32 v21, -v17, v19, v16
	v_fma_f32 v22, -v18, v19, v16
	v_cvt_f32_u32_e32 v20, v20
	v_cmp_ge_f32_e64 s[22:23], 0, v21
	v_cvt_f32_u32_e32 v14, v14
	v_cndmask_b32_e64 v17, v19, v17, s[22:23]
	v_cmp_lt_f32_e64 s[22:23], 0, v22
	v_cndmask_b32_e64 v17, v17, v18, s[22:23]
	v_mul_f32_e32 v18, 0x37800000, v17
	v_cndmask_b32_e32 v17, v17, v18, vcc
	v_fma_f32 v18, v20, s29, 0
	v_cmp_class_f32_e32 vcc, v16, v11
	v_fma_f32 v14, v14, s29, 0
	v_cndmask_b32_e32 v16, v17, v16, vcc
	v_mul_f32_e32 v17, v18, v18
	v_add_f32_e32 v15, 1.0, v12
	v_cmp_nge_f32_e32 vcc, 1.0, v16
	v_fmac_f32_e32 v17, v14, v14
	v_cndmask_b32_e32 v12, v15, v12, vcc
	v_mul_f32_e32 v14, 0x4f800000, v17
	v_cmp_gt_f32_e32 vcc, s30, v17
	v_cndmask_b32_e32 v14, v17, v14, vcc
	v_sqrt_f32_e32 v16, v14
	s_add_i32 s26, s26, -2
	v_add_f32_e32 v15, 1.0, v12
	s_cmp_lg_u32 s26, 0
	v_add_u32_e32 v17, -1, v16
	v_add_u32_e32 v18, 1, v16
	v_fma_f32 v19, -v17, v16, v14
	v_fma_f32 v20, -v18, v16, v14
	v_cmp_ge_f32_e64 s[22:23], 0, v19
	v_cndmask_b32_e64 v16, v16, v17, s[22:23]
	v_cmp_lt_f32_e64 s[22:23], 0, v20
	v_cndmask_b32_e64 v16, v16, v18, s[22:23]
	v_mul_f32_e32 v17, 0x37800000, v16
	v_cndmask_b32_e32 v16, v16, v17, vcc
	v_cmp_class_f32_e32 vcc, v14, v11
	v_cndmask_b32_e32 v14, v16, v14, vcc
	v_cmp_nge_f32_e32 vcc, 1.0, v14
	v_cndmask_b32_e32 v12, v15, v12, vcc
	s_cbranch_scc1 .LBB29_364
; %bb.365:
	v_mul_f32_e32 v11, 4.0, v12
	s_mov_b32 s26, 0x461c4000
	v_div_scale_f32 v12, s[22:23], s26, s26, v11
	v_rcp_f32_e32 v13, v12
	v_fma_f32 v14, -v12, v13, 1.0
	v_fmac_f32_e32 v13, v14, v13
	v_div_scale_f32 v14, vcc, v11, s26, v11
	v_mul_f32_e32 v15, v14, v13
	v_fma_f32 v16, -v12, v15, v14
	v_fmac_f32_e32 v15, v16, v13
	v_fma_f32 v12, -v12, v15, v14
	v_div_fmas_f32 v12, v12, v13, v15
	v_div_fixup_f32 v11, v12, s26, v11
.LBB29_366:
	s_or_b64 exec, exec, s[24:25]
	v_add_u32_e32 v13, 0x580, v0
	v_cmp_gt_u32_e64 s[22:23], s81, v13
                                        ; implicit-def: $vgpr12
	s_and_saveexec_b64 s[26:27], s[22:23]
	s_cbranch_execz .LBB29_370
; %bb.367:
	v_add_u32_e32 v12, s80, v13
	v_lshlrev_b32_e32 v13, 12, v12
	s_mov_b32 s24, 0x7ed55d16
	v_add3_u32 v12, v12, v13, s24
	v_lshrrev_b32_e32 v13, 19, v12
	v_xor_b32_e32 v12, v12, v13
	v_xor_b32_e32 v12, 0xc761c23c, v12
	v_lshl_add_u32 v12, v12, 5, v12
	v_mov_b32_e32 v14, 0xaccf6200
	v_add_u32_e32 v13, 0xe9f8cc1d, v12
	v_lshl_add_u32 v12, v12, 9, v14
	v_xor_b32_e32 v12, v13, v12
	v_lshlrev_b32_e32 v13, 3, v12
	s_mov_b32 s24, 0xfd7046c5
	v_add3_u32 v12, v12, v13, s24
	v_xor_b32_sdwa v12, v12, v12 dst_sel:DWORD dst_unused:UNUSED_PAD src0_sel:DWORD src1_sel:WORD_1
	v_xor_b32_e32 v12, 0xb55a4f09, v12
	v_mul_hi_u32 v13, v12, 3
	v_sub_u32_e32 v14, v12, v13
	v_lshrrev_b32_e32 v14, 1, v14
	v_add_u32_e32 v13, v14, v13
	v_lshrrev_b32_e32 v13, 30, v13
	s_brev_b32 s24, -2
	v_mul_lo_u32 v13, v13, s24
	v_sub_u32_e32 v12, v12, v13
	v_max_u32_e32 v14, 1, v12
	s_movk_i32 s28, 0x2710
	v_mov_b32_e32 v13, 0
	s_mov_b32 s29, 0xbc8f1391
	s_mov_b32 s30, 0xbc8f
	s_brev_b32 s31, 12
	s_mov_b32 s34, 0xf800000
	v_mov_b32_e32 v12, 0x260
.LBB29_368:                             ; =>This Inner Loop Header: Depth=1
	v_mul_hi_u32 v15, v14, s29
	v_lshrrev_b32_e32 v15, 15, v15
	v_mul_u32_u24_e32 v17, 0xadc8, v15
	v_sub_u32_e32 v14, v14, v17
	v_mul_u32_u24_e32 v15, 0xd47, v15
	v_mul_lo_u32 v14, v14, s30
	v_xor_b32_e32 v17, 0x7fffffff, v15
	v_sub_u32_e32 v18, 0, v15
	v_cmp_lt_u32_e32 vcc, v14, v15
	v_cndmask_b32_e32 v15, v18, v17, vcc
	v_add_u32_e32 v14, v15, v14
	v_mul_hi_u32 v17, v14, s29
	v_lshrrev_b32_e32 v17, 15, v17
	v_mul_u32_u24_e32 v18, 0xadc8, v17
	v_add_u32_e32 v15, -1, v14
	v_sub_u32_e32 v14, v14, v18
	v_mul_u32_u24_e32 v17, 0xd47, v17
	v_mul_lo_u32 v14, v14, s30
	v_xor_b32_e32 v18, 0x7fffffff, v17
	v_sub_u32_e32 v19, 0, v17
	v_cmp_lt_u32_e32 vcc, v14, v17
	v_cndmask_b32_e32 v17, v19, v18, vcc
	v_add_u32_e32 v14, v17, v14
	v_mul_hi_u32 v18, v14, s29
	v_add_u32_e32 v17, -1, v14
	v_lshrrev_b32_e32 v18, 15, v18
	v_cvt_f32_u32_e32 v17, v17
	v_mul_u32_u24_e32 v19, 0xadc8, v18
	v_cvt_f32_u32_e32 v15, v15
	v_sub_u32_e32 v14, v14, v19
	v_mul_u32_u24_e32 v18, 0xd47, v18
	v_mul_lo_u32 v14, v14, s30
	v_xor_b32_e32 v19, 0x7fffffff, v18
	v_sub_u32_e32 v20, 0, v18
	v_cmp_lt_u32_e32 vcc, v14, v18
	v_fma_f32 v17, v17, s31, 0
	v_cndmask_b32_e32 v18, v20, v19, vcc
	v_fma_f32 v15, v15, s31, 0
	v_mul_f32_e32 v17, v17, v17
	v_add_u32_e32 v14, v18, v14
	v_fmac_f32_e32 v17, v15, v15
	v_mul_hi_u32 v18, v14, s29
	v_mul_f32_e32 v19, 0x4f800000, v17
	v_lshrrev_b32_e32 v18, 15, v18
	v_cmp_gt_f32_e32 vcc, s34, v17
	v_cndmask_b32_e32 v17, v17, v19, vcc
	v_mul_u32_u24_e32 v19, 0xadc8, v18
	v_add_u32_e32 v15, -1, v14
	v_sqrt_f32_e32 v20, v17
	v_sub_u32_e32 v14, v14, v19
	v_mul_u32_u24_e32 v18, 0xd47, v18
	v_mul_lo_u32 v14, v14, s30
	v_xor_b32_e32 v19, 0x7fffffff, v18
	v_sub_u32_e32 v21, 0, v18
	v_cmp_lt_u32_e64 s[24:25], v14, v18
	v_cndmask_b32_e64 v18, v21, v19, s[24:25]
	v_add_u32_e32 v14, v18, v14
	v_add_u32_e32 v18, -1, v20
	v_add_u32_e32 v19, 1, v20
	v_add_u32_e32 v21, -1, v14
	v_fma_f32 v22, -v18, v20, v17
	v_fma_f32 v23, -v19, v20, v17
	v_cvt_f32_u32_e32 v21, v21
	v_cmp_ge_f32_e64 s[24:25], 0, v22
	v_cvt_f32_u32_e32 v15, v15
	v_cndmask_b32_e64 v18, v20, v18, s[24:25]
	v_cmp_lt_f32_e64 s[24:25], 0, v23
	v_cndmask_b32_e64 v18, v18, v19, s[24:25]
	v_mul_f32_e32 v19, 0x37800000, v18
	v_cndmask_b32_e32 v18, v18, v19, vcc
	v_fma_f32 v19, v21, s31, 0
	v_cmp_class_f32_e32 vcc, v17, v12
	v_fma_f32 v15, v15, s31, 0
	v_cndmask_b32_e32 v17, v18, v17, vcc
	v_mul_f32_e32 v18, v19, v19
	v_add_f32_e32 v16, 1.0, v13
	v_cmp_nge_f32_e32 vcc, 1.0, v17
	v_fmac_f32_e32 v18, v15, v15
	v_cndmask_b32_e32 v13, v16, v13, vcc
	v_mul_f32_e32 v15, 0x4f800000, v18
	v_cmp_gt_f32_e32 vcc, s34, v18
	v_cndmask_b32_e32 v15, v18, v15, vcc
	v_sqrt_f32_e32 v17, v15
	s_add_i32 s28, s28, -2
	v_add_f32_e32 v16, 1.0, v13
	s_cmp_lg_u32 s28, 0
	v_add_u32_e32 v18, -1, v17
	v_add_u32_e32 v19, 1, v17
	v_fma_f32 v20, -v18, v17, v15
	v_fma_f32 v21, -v19, v17, v15
	v_cmp_ge_f32_e64 s[24:25], 0, v20
	v_cndmask_b32_e64 v17, v17, v18, s[24:25]
	v_cmp_lt_f32_e64 s[24:25], 0, v21
	v_cndmask_b32_e64 v17, v17, v19, s[24:25]
	v_mul_f32_e32 v18, 0x37800000, v17
	v_cndmask_b32_e32 v17, v17, v18, vcc
	v_cmp_class_f32_e32 vcc, v15, v12
	v_cndmask_b32_e32 v15, v17, v15, vcc
	v_cmp_nge_f32_e32 vcc, 1.0, v15
	v_cndmask_b32_e32 v13, v16, v13, vcc
	s_cbranch_scc1 .LBB29_368
; %bb.369:
	v_mul_f32_e32 v12, 4.0, v13
	s_mov_b32 s28, 0x461c4000
	v_div_scale_f32 v13, s[24:25], s28, s28, v12
	v_rcp_f32_e32 v14, v13
	v_fma_f32 v15, -v13, v14, 1.0
	v_fmac_f32_e32 v14, v15, v14
	v_div_scale_f32 v15, vcc, v12, s28, v12
	v_mul_f32_e32 v16, v15, v14
	v_fma_f32 v17, -v13, v16, v15
	v_fmac_f32_e32 v16, v17, v14
	v_fma_f32 v13, -v13, v16, v15
	v_div_fmas_f32 v13, v13, v14, v16
	v_div_fixup_f32 v12, v13, s28, v12
.LBB29_370:
	s_or_b64 exec, exec, s[26:27]
	v_add_u32_e32 v14, 0x600, v0
	v_cmp_gt_u32_e64 s[24:25], s81, v14
                                        ; implicit-def: $vgpr13
	s_and_saveexec_b64 s[28:29], s[24:25]
	s_cbranch_execz .LBB29_374
; %bb.371:
	v_add_u32_e32 v13, s80, v14
	v_lshlrev_b32_e32 v14, 12, v13
	s_mov_b32 s26, 0x7ed55d16
	v_add3_u32 v13, v13, v14, s26
	v_lshrrev_b32_e32 v14, 19, v13
	v_xor_b32_e32 v13, v13, v14
	v_xor_b32_e32 v13, 0xc761c23c, v13
	v_lshl_add_u32 v13, v13, 5, v13
	v_mov_b32_e32 v15, 0xaccf6200
	v_add_u32_e32 v14, 0xe9f8cc1d, v13
	v_lshl_add_u32 v13, v13, 9, v15
	v_xor_b32_e32 v13, v14, v13
	v_lshlrev_b32_e32 v14, 3, v13
	s_mov_b32 s26, 0xfd7046c5
	v_add3_u32 v13, v13, v14, s26
	v_xor_b32_sdwa v13, v13, v13 dst_sel:DWORD dst_unused:UNUSED_PAD src0_sel:DWORD src1_sel:WORD_1
	v_xor_b32_e32 v13, 0xb55a4f09, v13
	v_mul_hi_u32 v14, v13, 3
	v_sub_u32_e32 v15, v13, v14
	v_lshrrev_b32_e32 v15, 1, v15
	v_add_u32_e32 v14, v15, v14
	v_lshrrev_b32_e32 v14, 30, v14
	s_brev_b32 s26, -2
	v_mul_lo_u32 v14, v14, s26
	v_sub_u32_e32 v13, v13, v14
	v_max_u32_e32 v15, 1, v13
	s_movk_i32 s30, 0x2710
	v_mov_b32_e32 v14, 0
	s_mov_b32 s31, 0xbc8f1391
	s_mov_b32 s34, 0xbc8f
	s_brev_b32 s35, 12
	s_mov_b32 s36, 0xf800000
	v_mov_b32_e32 v13, 0x260
.LBB29_372:                             ; =>This Inner Loop Header: Depth=1
	v_mul_hi_u32 v16, v15, s31
	v_lshrrev_b32_e32 v16, 15, v16
	v_mul_u32_u24_e32 v18, 0xadc8, v16
	v_sub_u32_e32 v15, v15, v18
	v_mul_u32_u24_e32 v16, 0xd47, v16
	v_mul_lo_u32 v15, v15, s34
	v_xor_b32_e32 v18, 0x7fffffff, v16
	v_sub_u32_e32 v19, 0, v16
	v_cmp_lt_u32_e32 vcc, v15, v16
	v_cndmask_b32_e32 v16, v19, v18, vcc
	v_add_u32_e32 v15, v16, v15
	v_mul_hi_u32 v18, v15, s31
	v_lshrrev_b32_e32 v18, 15, v18
	v_mul_u32_u24_e32 v19, 0xadc8, v18
	v_add_u32_e32 v16, -1, v15
	v_sub_u32_e32 v15, v15, v19
	v_mul_u32_u24_e32 v18, 0xd47, v18
	v_mul_lo_u32 v15, v15, s34
	v_xor_b32_e32 v19, 0x7fffffff, v18
	v_sub_u32_e32 v20, 0, v18
	v_cmp_lt_u32_e32 vcc, v15, v18
	v_cndmask_b32_e32 v18, v20, v19, vcc
	v_add_u32_e32 v15, v18, v15
	v_mul_hi_u32 v19, v15, s31
	v_add_u32_e32 v18, -1, v15
	v_lshrrev_b32_e32 v19, 15, v19
	v_cvt_f32_u32_e32 v18, v18
	v_mul_u32_u24_e32 v20, 0xadc8, v19
	v_cvt_f32_u32_e32 v16, v16
	v_sub_u32_e32 v15, v15, v20
	v_mul_u32_u24_e32 v19, 0xd47, v19
	v_mul_lo_u32 v15, v15, s34
	v_xor_b32_e32 v20, 0x7fffffff, v19
	v_sub_u32_e32 v21, 0, v19
	v_cmp_lt_u32_e32 vcc, v15, v19
	v_fma_f32 v18, v18, s35, 0
	v_cndmask_b32_e32 v19, v21, v20, vcc
	v_fma_f32 v16, v16, s35, 0
	v_mul_f32_e32 v18, v18, v18
	v_add_u32_e32 v15, v19, v15
	v_fmac_f32_e32 v18, v16, v16
	v_mul_hi_u32 v19, v15, s31
	v_mul_f32_e32 v20, 0x4f800000, v18
	v_lshrrev_b32_e32 v19, 15, v19
	v_cmp_gt_f32_e32 vcc, s36, v18
	v_cndmask_b32_e32 v18, v18, v20, vcc
	v_mul_u32_u24_e32 v20, 0xadc8, v19
	v_add_u32_e32 v16, -1, v15
	v_sqrt_f32_e32 v21, v18
	v_sub_u32_e32 v15, v15, v20
	v_mul_u32_u24_e32 v19, 0xd47, v19
	v_mul_lo_u32 v15, v15, s34
	v_xor_b32_e32 v20, 0x7fffffff, v19
	v_sub_u32_e32 v22, 0, v19
	v_cmp_lt_u32_e64 s[26:27], v15, v19
	v_cndmask_b32_e64 v19, v22, v20, s[26:27]
	v_add_u32_e32 v15, v19, v15
	v_add_u32_e32 v19, -1, v21
	v_add_u32_e32 v20, 1, v21
	v_add_u32_e32 v22, -1, v15
	v_fma_f32 v23, -v19, v21, v18
	v_fma_f32 v24, -v20, v21, v18
	v_cvt_f32_u32_e32 v22, v22
	v_cmp_ge_f32_e64 s[26:27], 0, v23
	v_cvt_f32_u32_e32 v16, v16
	v_cndmask_b32_e64 v19, v21, v19, s[26:27]
	v_cmp_lt_f32_e64 s[26:27], 0, v24
	v_cndmask_b32_e64 v19, v19, v20, s[26:27]
	v_mul_f32_e32 v20, 0x37800000, v19
	v_cndmask_b32_e32 v19, v19, v20, vcc
	v_fma_f32 v20, v22, s35, 0
	v_cmp_class_f32_e32 vcc, v18, v13
	v_fma_f32 v16, v16, s35, 0
	v_cndmask_b32_e32 v18, v19, v18, vcc
	v_mul_f32_e32 v19, v20, v20
	v_add_f32_e32 v17, 1.0, v14
	v_cmp_nge_f32_e32 vcc, 1.0, v18
	v_fmac_f32_e32 v19, v16, v16
	v_cndmask_b32_e32 v14, v17, v14, vcc
	v_mul_f32_e32 v16, 0x4f800000, v19
	v_cmp_gt_f32_e32 vcc, s36, v19
	v_cndmask_b32_e32 v16, v19, v16, vcc
	v_sqrt_f32_e32 v18, v16
	s_add_i32 s30, s30, -2
	v_add_f32_e32 v17, 1.0, v14
	s_cmp_lg_u32 s30, 0
	v_add_u32_e32 v19, -1, v18
	v_add_u32_e32 v20, 1, v18
	v_fma_f32 v21, -v19, v18, v16
	v_fma_f32 v22, -v20, v18, v16
	v_cmp_ge_f32_e64 s[26:27], 0, v21
	v_cndmask_b32_e64 v18, v18, v19, s[26:27]
	v_cmp_lt_f32_e64 s[26:27], 0, v22
	v_cndmask_b32_e64 v18, v18, v20, s[26:27]
	v_mul_f32_e32 v19, 0x37800000, v18
	v_cndmask_b32_e32 v18, v18, v19, vcc
	v_cmp_class_f32_e32 vcc, v16, v13
	v_cndmask_b32_e32 v16, v18, v16, vcc
	v_cmp_nge_f32_e32 vcc, 1.0, v16
	v_cndmask_b32_e32 v14, v17, v14, vcc
	s_cbranch_scc1 .LBB29_372
; %bb.373:
	v_mul_f32_e32 v13, 4.0, v14
	s_mov_b32 s30, 0x461c4000
	v_div_scale_f32 v14, s[26:27], s30, s30, v13
	v_rcp_f32_e32 v15, v14
	v_fma_f32 v16, -v14, v15, 1.0
	v_fmac_f32_e32 v15, v16, v15
	v_div_scale_f32 v16, vcc, v13, s30, v13
	v_mul_f32_e32 v17, v16, v15
	v_fma_f32 v18, -v14, v17, v16
	v_fmac_f32_e32 v17, v18, v15
	v_fma_f32 v14, -v14, v17, v16
	v_div_fmas_f32 v14, v14, v15, v17
	v_div_fixup_f32 v13, v14, s30, v13
.LBB29_374:
	s_or_b64 exec, exec, s[28:29]
	v_add_u32_e32 v15, 0x680, v0
	v_cmp_gt_u32_e64 s[26:27], s81, v15
                                        ; implicit-def: $vgpr14
	s_and_saveexec_b64 s[30:31], s[26:27]
	s_cbranch_execz .LBB29_378
; %bb.375:
	v_add_u32_e32 v14, s80, v15
	v_lshlrev_b32_e32 v15, 12, v14
	s_mov_b32 s28, 0x7ed55d16
	v_add3_u32 v14, v14, v15, s28
	v_lshrrev_b32_e32 v15, 19, v14
	v_xor_b32_e32 v14, v14, v15
	v_xor_b32_e32 v14, 0xc761c23c, v14
	v_lshl_add_u32 v14, v14, 5, v14
	v_mov_b32_e32 v16, 0xaccf6200
	v_add_u32_e32 v15, 0xe9f8cc1d, v14
	v_lshl_add_u32 v14, v14, 9, v16
	v_xor_b32_e32 v14, v15, v14
	v_lshlrev_b32_e32 v15, 3, v14
	s_mov_b32 s28, 0xfd7046c5
	v_add3_u32 v14, v14, v15, s28
	v_xor_b32_sdwa v14, v14, v14 dst_sel:DWORD dst_unused:UNUSED_PAD src0_sel:DWORD src1_sel:WORD_1
	v_xor_b32_e32 v14, 0xb55a4f09, v14
	v_mul_hi_u32 v15, v14, 3
	v_sub_u32_e32 v16, v14, v15
	v_lshrrev_b32_e32 v16, 1, v16
	v_add_u32_e32 v15, v16, v15
	v_lshrrev_b32_e32 v15, 30, v15
	s_brev_b32 s28, -2
	v_mul_lo_u32 v15, v15, s28
	v_sub_u32_e32 v14, v14, v15
	v_max_u32_e32 v16, 1, v14
	s_movk_i32 s34, 0x2710
	v_mov_b32_e32 v15, 0
	s_mov_b32 s35, 0xbc8f1391
	s_mov_b32 s36, 0xbc8f
	s_brev_b32 s37, 12
	s_mov_b32 s38, 0xf800000
	v_mov_b32_e32 v14, 0x260
.LBB29_376:                             ; =>This Inner Loop Header: Depth=1
	v_mul_hi_u32 v17, v16, s35
	v_lshrrev_b32_e32 v17, 15, v17
	v_mul_u32_u24_e32 v19, 0xadc8, v17
	v_sub_u32_e32 v16, v16, v19
	v_mul_u32_u24_e32 v17, 0xd47, v17
	v_mul_lo_u32 v16, v16, s36
	v_xor_b32_e32 v19, 0x7fffffff, v17
	v_sub_u32_e32 v20, 0, v17
	v_cmp_lt_u32_e32 vcc, v16, v17
	v_cndmask_b32_e32 v17, v20, v19, vcc
	v_add_u32_e32 v16, v17, v16
	v_mul_hi_u32 v19, v16, s35
	v_lshrrev_b32_e32 v19, 15, v19
	v_mul_u32_u24_e32 v20, 0xadc8, v19
	v_add_u32_e32 v17, -1, v16
	v_sub_u32_e32 v16, v16, v20
	v_mul_u32_u24_e32 v19, 0xd47, v19
	v_mul_lo_u32 v16, v16, s36
	v_xor_b32_e32 v20, 0x7fffffff, v19
	v_sub_u32_e32 v21, 0, v19
	v_cmp_lt_u32_e32 vcc, v16, v19
	v_cndmask_b32_e32 v19, v21, v20, vcc
	v_add_u32_e32 v16, v19, v16
	v_mul_hi_u32 v20, v16, s35
	v_add_u32_e32 v19, -1, v16
	v_lshrrev_b32_e32 v20, 15, v20
	v_cvt_f32_u32_e32 v19, v19
	v_mul_u32_u24_e32 v21, 0xadc8, v20
	v_cvt_f32_u32_e32 v17, v17
	v_sub_u32_e32 v16, v16, v21
	v_mul_u32_u24_e32 v20, 0xd47, v20
	v_mul_lo_u32 v16, v16, s36
	v_xor_b32_e32 v21, 0x7fffffff, v20
	v_sub_u32_e32 v22, 0, v20
	v_cmp_lt_u32_e32 vcc, v16, v20
	v_fma_f32 v19, v19, s37, 0
	v_cndmask_b32_e32 v20, v22, v21, vcc
	v_fma_f32 v17, v17, s37, 0
	v_mul_f32_e32 v19, v19, v19
	v_add_u32_e32 v16, v20, v16
	v_fmac_f32_e32 v19, v17, v17
	v_mul_hi_u32 v20, v16, s35
	v_mul_f32_e32 v21, 0x4f800000, v19
	v_lshrrev_b32_e32 v20, 15, v20
	v_cmp_gt_f32_e32 vcc, s38, v19
	v_cndmask_b32_e32 v19, v19, v21, vcc
	v_mul_u32_u24_e32 v21, 0xadc8, v20
	v_add_u32_e32 v17, -1, v16
	v_sqrt_f32_e32 v22, v19
	v_sub_u32_e32 v16, v16, v21
	v_mul_u32_u24_e32 v20, 0xd47, v20
	v_mul_lo_u32 v16, v16, s36
	v_xor_b32_e32 v21, 0x7fffffff, v20
	v_sub_u32_e32 v23, 0, v20
	v_cmp_lt_u32_e64 s[28:29], v16, v20
	v_cndmask_b32_e64 v20, v23, v21, s[28:29]
	v_add_u32_e32 v16, v20, v16
	v_add_u32_e32 v20, -1, v22
	v_add_u32_e32 v21, 1, v22
	v_add_u32_e32 v23, -1, v16
	v_fma_f32 v24, -v20, v22, v19
	v_fma_f32 v25, -v21, v22, v19
	v_cvt_f32_u32_e32 v23, v23
	v_cmp_ge_f32_e64 s[28:29], 0, v24
	v_cvt_f32_u32_e32 v17, v17
	v_cndmask_b32_e64 v20, v22, v20, s[28:29]
	v_cmp_lt_f32_e64 s[28:29], 0, v25
	v_cndmask_b32_e64 v20, v20, v21, s[28:29]
	v_mul_f32_e32 v21, 0x37800000, v20
	v_cndmask_b32_e32 v20, v20, v21, vcc
	v_fma_f32 v21, v23, s37, 0
	v_cmp_class_f32_e32 vcc, v19, v14
	v_fma_f32 v17, v17, s37, 0
	v_cndmask_b32_e32 v19, v20, v19, vcc
	v_mul_f32_e32 v20, v21, v21
	v_add_f32_e32 v18, 1.0, v15
	v_cmp_nge_f32_e32 vcc, 1.0, v19
	v_fmac_f32_e32 v20, v17, v17
	v_cndmask_b32_e32 v15, v18, v15, vcc
	v_mul_f32_e32 v17, 0x4f800000, v20
	v_cmp_gt_f32_e32 vcc, s38, v20
	v_cndmask_b32_e32 v17, v20, v17, vcc
	v_sqrt_f32_e32 v19, v17
	s_add_i32 s34, s34, -2
	v_add_f32_e32 v18, 1.0, v15
	s_cmp_lg_u32 s34, 0
	v_add_u32_e32 v20, -1, v19
	v_add_u32_e32 v21, 1, v19
	v_fma_f32 v22, -v20, v19, v17
	v_fma_f32 v23, -v21, v19, v17
	v_cmp_ge_f32_e64 s[28:29], 0, v22
	v_cndmask_b32_e64 v19, v19, v20, s[28:29]
	v_cmp_lt_f32_e64 s[28:29], 0, v23
	v_cndmask_b32_e64 v19, v19, v21, s[28:29]
	v_mul_f32_e32 v20, 0x37800000, v19
	v_cndmask_b32_e32 v19, v19, v20, vcc
	v_cmp_class_f32_e32 vcc, v17, v14
	v_cndmask_b32_e32 v17, v19, v17, vcc
	v_cmp_nge_f32_e32 vcc, 1.0, v17
	v_cndmask_b32_e32 v15, v18, v15, vcc
	s_cbranch_scc1 .LBB29_376
; %bb.377:
	v_mul_f32_e32 v14, 4.0, v15
	s_mov_b32 s34, 0x461c4000
	v_div_scale_f32 v15, s[28:29], s34, s34, v14
	v_rcp_f32_e32 v16, v15
	v_fma_f32 v17, -v15, v16, 1.0
	v_fmac_f32_e32 v16, v17, v16
	v_div_scale_f32 v17, vcc, v14, s34, v14
	v_mul_f32_e32 v18, v17, v16
	v_fma_f32 v19, -v15, v18, v17
	v_fmac_f32_e32 v18, v19, v16
	v_fma_f32 v15, -v15, v18, v17
	v_div_fmas_f32 v15, v15, v16, v18
	v_div_fixup_f32 v14, v15, s34, v14
.LBB29_378:
	s_or_b64 exec, exec, s[30:31]
	v_add_u32_e32 v16, 0x700, v0
	v_cmp_gt_u32_e64 s[28:29], s81, v16
                                        ; implicit-def: $vgpr15
	s_and_saveexec_b64 s[34:35], s[28:29]
	s_cbranch_execz .LBB29_382
; %bb.379:
	v_add_u32_e32 v15, s80, v16
	v_lshlrev_b32_e32 v16, 12, v15
	s_mov_b32 s30, 0x7ed55d16
	v_add3_u32 v15, v15, v16, s30
	v_lshrrev_b32_e32 v16, 19, v15
	v_xor_b32_e32 v15, v15, v16
	v_xor_b32_e32 v15, 0xc761c23c, v15
	v_lshl_add_u32 v15, v15, 5, v15
	v_mov_b32_e32 v17, 0xaccf6200
	v_add_u32_e32 v16, 0xe9f8cc1d, v15
	v_lshl_add_u32 v15, v15, 9, v17
	v_xor_b32_e32 v15, v16, v15
	v_lshlrev_b32_e32 v16, 3, v15
	s_mov_b32 s30, 0xfd7046c5
	v_add3_u32 v15, v15, v16, s30
	v_xor_b32_sdwa v15, v15, v15 dst_sel:DWORD dst_unused:UNUSED_PAD src0_sel:DWORD src1_sel:WORD_1
	v_xor_b32_e32 v15, 0xb55a4f09, v15
	v_mul_hi_u32 v16, v15, 3
	v_sub_u32_e32 v17, v15, v16
	v_lshrrev_b32_e32 v17, 1, v17
	v_add_u32_e32 v16, v17, v16
	v_lshrrev_b32_e32 v16, 30, v16
	s_brev_b32 s30, -2
	v_mul_lo_u32 v16, v16, s30
	v_sub_u32_e32 v15, v15, v16
	v_max_u32_e32 v17, 1, v15
	s_movk_i32 s36, 0x2710
	v_mov_b32_e32 v16, 0
	s_mov_b32 s37, 0xbc8f1391
	s_mov_b32 s38, 0xbc8f
	s_brev_b32 s39, 12
	s_mov_b32 s40, 0xf800000
	v_mov_b32_e32 v15, 0x260
.LBB29_380:                             ; =>This Inner Loop Header: Depth=1
	v_mul_hi_u32 v18, v17, s37
	v_lshrrev_b32_e32 v18, 15, v18
	v_mul_u32_u24_e32 v20, 0xadc8, v18
	v_sub_u32_e32 v17, v17, v20
	v_mul_u32_u24_e32 v18, 0xd47, v18
	v_mul_lo_u32 v17, v17, s38
	v_xor_b32_e32 v20, 0x7fffffff, v18
	v_sub_u32_e32 v21, 0, v18
	v_cmp_lt_u32_e32 vcc, v17, v18
	v_cndmask_b32_e32 v18, v21, v20, vcc
	v_add_u32_e32 v17, v18, v17
	v_mul_hi_u32 v20, v17, s37
	v_lshrrev_b32_e32 v20, 15, v20
	v_mul_u32_u24_e32 v21, 0xadc8, v20
	v_add_u32_e32 v18, -1, v17
	v_sub_u32_e32 v17, v17, v21
	v_mul_u32_u24_e32 v20, 0xd47, v20
	v_mul_lo_u32 v17, v17, s38
	v_xor_b32_e32 v21, 0x7fffffff, v20
	v_sub_u32_e32 v22, 0, v20
	v_cmp_lt_u32_e32 vcc, v17, v20
	v_cndmask_b32_e32 v20, v22, v21, vcc
	v_add_u32_e32 v17, v20, v17
	v_mul_hi_u32 v21, v17, s37
	v_add_u32_e32 v20, -1, v17
	v_lshrrev_b32_e32 v21, 15, v21
	v_cvt_f32_u32_e32 v20, v20
	v_mul_u32_u24_e32 v22, 0xadc8, v21
	v_cvt_f32_u32_e32 v18, v18
	v_sub_u32_e32 v17, v17, v22
	v_mul_u32_u24_e32 v21, 0xd47, v21
	v_mul_lo_u32 v17, v17, s38
	v_xor_b32_e32 v22, 0x7fffffff, v21
	v_sub_u32_e32 v23, 0, v21
	v_cmp_lt_u32_e32 vcc, v17, v21
	v_fma_f32 v20, v20, s39, 0
	v_cndmask_b32_e32 v21, v23, v22, vcc
	v_fma_f32 v18, v18, s39, 0
	v_mul_f32_e32 v20, v20, v20
	v_add_u32_e32 v17, v21, v17
	v_fmac_f32_e32 v20, v18, v18
	v_mul_hi_u32 v21, v17, s37
	v_mul_f32_e32 v22, 0x4f800000, v20
	v_lshrrev_b32_e32 v21, 15, v21
	v_cmp_gt_f32_e32 vcc, s40, v20
	v_cndmask_b32_e32 v20, v20, v22, vcc
	v_mul_u32_u24_e32 v22, 0xadc8, v21
	v_add_u32_e32 v18, -1, v17
	v_sqrt_f32_e32 v23, v20
	v_sub_u32_e32 v17, v17, v22
	v_mul_u32_u24_e32 v21, 0xd47, v21
	v_mul_lo_u32 v17, v17, s38
	v_xor_b32_e32 v22, 0x7fffffff, v21
	v_sub_u32_e32 v24, 0, v21
	v_cmp_lt_u32_e64 s[30:31], v17, v21
	v_cndmask_b32_e64 v21, v24, v22, s[30:31]
	v_add_u32_e32 v17, v21, v17
	v_add_u32_e32 v21, -1, v23
	v_add_u32_e32 v22, 1, v23
	v_add_u32_e32 v24, -1, v17
	v_fma_f32 v25, -v21, v23, v20
	v_fma_f32 v26, -v22, v23, v20
	v_cvt_f32_u32_e32 v24, v24
	v_cmp_ge_f32_e64 s[30:31], 0, v25
	v_cvt_f32_u32_e32 v18, v18
	v_cndmask_b32_e64 v21, v23, v21, s[30:31]
	v_cmp_lt_f32_e64 s[30:31], 0, v26
	v_cndmask_b32_e64 v21, v21, v22, s[30:31]
	v_mul_f32_e32 v22, 0x37800000, v21
	v_cndmask_b32_e32 v21, v21, v22, vcc
	v_fma_f32 v22, v24, s39, 0
	v_cmp_class_f32_e32 vcc, v20, v15
	v_fma_f32 v18, v18, s39, 0
	v_cndmask_b32_e32 v20, v21, v20, vcc
	v_mul_f32_e32 v21, v22, v22
	v_add_f32_e32 v19, 1.0, v16
	v_cmp_nge_f32_e32 vcc, 1.0, v20
	v_fmac_f32_e32 v21, v18, v18
	v_cndmask_b32_e32 v16, v19, v16, vcc
	v_mul_f32_e32 v18, 0x4f800000, v21
	v_cmp_gt_f32_e32 vcc, s40, v21
	v_cndmask_b32_e32 v18, v21, v18, vcc
	v_sqrt_f32_e32 v20, v18
	s_add_i32 s36, s36, -2
	v_add_f32_e32 v19, 1.0, v16
	s_cmp_lg_u32 s36, 0
	v_add_u32_e32 v21, -1, v20
	v_add_u32_e32 v22, 1, v20
	v_fma_f32 v23, -v21, v20, v18
	v_fma_f32 v24, -v22, v20, v18
	v_cmp_ge_f32_e64 s[30:31], 0, v23
	v_cndmask_b32_e64 v20, v20, v21, s[30:31]
	v_cmp_lt_f32_e64 s[30:31], 0, v24
	v_cndmask_b32_e64 v20, v20, v22, s[30:31]
	v_mul_f32_e32 v21, 0x37800000, v20
	v_cndmask_b32_e32 v20, v20, v21, vcc
	v_cmp_class_f32_e32 vcc, v18, v15
	v_cndmask_b32_e32 v18, v20, v18, vcc
	v_cmp_nge_f32_e32 vcc, 1.0, v18
	v_cndmask_b32_e32 v16, v19, v16, vcc
	s_cbranch_scc1 .LBB29_380
; %bb.381:
	v_mul_f32_e32 v15, 4.0, v16
	s_mov_b32 s36, 0x461c4000
	v_div_scale_f32 v16, s[30:31], s36, s36, v15
	v_rcp_f32_e32 v17, v16
	v_fma_f32 v18, -v16, v17, 1.0
	v_fmac_f32_e32 v17, v18, v17
	v_div_scale_f32 v18, vcc, v15, s36, v15
	v_mul_f32_e32 v19, v18, v17
	v_fma_f32 v20, -v16, v19, v18
	v_fmac_f32_e32 v19, v20, v17
	v_fma_f32 v16, -v16, v19, v18
	v_div_fmas_f32 v16, v16, v17, v19
	v_div_fixup_f32 v15, v16, s36, v15
.LBB29_382:
	s_or_b64 exec, exec, s[34:35]
	v_add_u32_e32 v17, 0x780, v0
	v_cmp_gt_u32_e64 s[30:31], s81, v17
                                        ; implicit-def: $vgpr16
	s_and_saveexec_b64 s[36:37], s[30:31]
	s_cbranch_execz .LBB29_386
; %bb.383:
	v_add_u32_e32 v16, s80, v17
	v_lshlrev_b32_e32 v17, 12, v16
	s_mov_b32 s34, 0x7ed55d16
	v_add3_u32 v16, v16, v17, s34
	v_lshrrev_b32_e32 v17, 19, v16
	v_xor_b32_e32 v16, v16, v17
	v_xor_b32_e32 v16, 0xc761c23c, v16
	v_lshl_add_u32 v16, v16, 5, v16
	v_mov_b32_e32 v18, 0xaccf6200
	v_add_u32_e32 v17, 0xe9f8cc1d, v16
	v_lshl_add_u32 v16, v16, 9, v18
	v_xor_b32_e32 v16, v17, v16
	v_lshlrev_b32_e32 v17, 3, v16
	s_mov_b32 s34, 0xfd7046c5
	v_add3_u32 v16, v16, v17, s34
	v_xor_b32_sdwa v16, v16, v16 dst_sel:DWORD dst_unused:UNUSED_PAD src0_sel:DWORD src1_sel:WORD_1
	v_xor_b32_e32 v16, 0xb55a4f09, v16
	v_mul_hi_u32 v17, v16, 3
	v_sub_u32_e32 v18, v16, v17
	v_lshrrev_b32_e32 v18, 1, v18
	v_add_u32_e32 v17, v18, v17
	v_lshrrev_b32_e32 v17, 30, v17
	s_brev_b32 s34, -2
	v_mul_lo_u32 v17, v17, s34
	v_sub_u32_e32 v16, v16, v17
	v_max_u32_e32 v18, 1, v16
	s_movk_i32 s38, 0x2710
	v_mov_b32_e32 v17, 0
	s_mov_b32 s39, 0xbc8f1391
	s_mov_b32 s40, 0xbc8f
	s_brev_b32 s41, 12
	s_mov_b32 s42, 0xf800000
	v_mov_b32_e32 v16, 0x260
.LBB29_384:                             ; =>This Inner Loop Header: Depth=1
	v_mul_hi_u32 v19, v18, s39
	v_lshrrev_b32_e32 v19, 15, v19
	v_mul_u32_u24_e32 v21, 0xadc8, v19
	v_sub_u32_e32 v18, v18, v21
	v_mul_u32_u24_e32 v19, 0xd47, v19
	v_mul_lo_u32 v18, v18, s40
	v_xor_b32_e32 v21, 0x7fffffff, v19
	v_sub_u32_e32 v22, 0, v19
	v_cmp_lt_u32_e32 vcc, v18, v19
	v_cndmask_b32_e32 v19, v22, v21, vcc
	v_add_u32_e32 v18, v19, v18
	v_mul_hi_u32 v21, v18, s39
	v_lshrrev_b32_e32 v21, 15, v21
	v_mul_u32_u24_e32 v22, 0xadc8, v21
	v_add_u32_e32 v19, -1, v18
	v_sub_u32_e32 v18, v18, v22
	v_mul_u32_u24_e32 v21, 0xd47, v21
	v_mul_lo_u32 v18, v18, s40
	v_xor_b32_e32 v22, 0x7fffffff, v21
	v_sub_u32_e32 v23, 0, v21
	v_cmp_lt_u32_e32 vcc, v18, v21
	v_cndmask_b32_e32 v21, v23, v22, vcc
	v_add_u32_e32 v18, v21, v18
	v_mul_hi_u32 v22, v18, s39
	v_add_u32_e32 v21, -1, v18
	v_lshrrev_b32_e32 v22, 15, v22
	v_cvt_f32_u32_e32 v21, v21
	v_mul_u32_u24_e32 v23, 0xadc8, v22
	v_cvt_f32_u32_e32 v19, v19
	v_sub_u32_e32 v18, v18, v23
	v_mul_u32_u24_e32 v22, 0xd47, v22
	v_mul_lo_u32 v18, v18, s40
	v_xor_b32_e32 v23, 0x7fffffff, v22
	v_sub_u32_e32 v24, 0, v22
	v_cmp_lt_u32_e32 vcc, v18, v22
	v_fma_f32 v21, v21, s41, 0
	v_cndmask_b32_e32 v22, v24, v23, vcc
	v_fma_f32 v19, v19, s41, 0
	v_mul_f32_e32 v21, v21, v21
	v_add_u32_e32 v18, v22, v18
	v_fmac_f32_e32 v21, v19, v19
	v_mul_hi_u32 v22, v18, s39
	v_mul_f32_e32 v23, 0x4f800000, v21
	v_lshrrev_b32_e32 v22, 15, v22
	v_cmp_gt_f32_e32 vcc, s42, v21
	v_cndmask_b32_e32 v21, v21, v23, vcc
	v_mul_u32_u24_e32 v23, 0xadc8, v22
	v_add_u32_e32 v19, -1, v18
	v_sqrt_f32_e32 v24, v21
	v_sub_u32_e32 v18, v18, v23
	v_mul_u32_u24_e32 v22, 0xd47, v22
	v_mul_lo_u32 v18, v18, s40
	v_xor_b32_e32 v23, 0x7fffffff, v22
	v_sub_u32_e32 v25, 0, v22
	v_cmp_lt_u32_e64 s[34:35], v18, v22
	v_cndmask_b32_e64 v22, v25, v23, s[34:35]
	v_add_u32_e32 v18, v22, v18
	v_add_u32_e32 v22, -1, v24
	v_add_u32_e32 v23, 1, v24
	v_add_u32_e32 v25, -1, v18
	v_fma_f32 v26, -v22, v24, v21
	v_fma_f32 v27, -v23, v24, v21
	v_cvt_f32_u32_e32 v25, v25
	v_cmp_ge_f32_e64 s[34:35], 0, v26
	v_cvt_f32_u32_e32 v19, v19
	v_cndmask_b32_e64 v22, v24, v22, s[34:35]
	v_cmp_lt_f32_e64 s[34:35], 0, v27
	v_cndmask_b32_e64 v22, v22, v23, s[34:35]
	v_mul_f32_e32 v23, 0x37800000, v22
	v_cndmask_b32_e32 v22, v22, v23, vcc
	v_fma_f32 v23, v25, s41, 0
	v_cmp_class_f32_e32 vcc, v21, v16
	v_fma_f32 v19, v19, s41, 0
	v_cndmask_b32_e32 v21, v22, v21, vcc
	v_mul_f32_e32 v22, v23, v23
	v_add_f32_e32 v20, 1.0, v17
	v_cmp_nge_f32_e32 vcc, 1.0, v21
	v_fmac_f32_e32 v22, v19, v19
	v_cndmask_b32_e32 v17, v20, v17, vcc
	v_mul_f32_e32 v19, 0x4f800000, v22
	v_cmp_gt_f32_e32 vcc, s42, v22
	v_cndmask_b32_e32 v19, v22, v19, vcc
	v_sqrt_f32_e32 v21, v19
	s_add_i32 s38, s38, -2
	v_add_f32_e32 v20, 1.0, v17
	s_cmp_lg_u32 s38, 0
	v_add_u32_e32 v22, -1, v21
	v_add_u32_e32 v23, 1, v21
	v_fma_f32 v24, -v22, v21, v19
	v_fma_f32 v25, -v23, v21, v19
	v_cmp_ge_f32_e64 s[34:35], 0, v24
	v_cndmask_b32_e64 v21, v21, v22, s[34:35]
	v_cmp_lt_f32_e64 s[34:35], 0, v25
	v_cndmask_b32_e64 v21, v21, v23, s[34:35]
	v_mul_f32_e32 v22, 0x37800000, v21
	v_cndmask_b32_e32 v21, v21, v22, vcc
	v_cmp_class_f32_e32 vcc, v19, v16
	v_cndmask_b32_e32 v19, v21, v19, vcc
	v_cmp_nge_f32_e32 vcc, 1.0, v19
	v_cndmask_b32_e32 v17, v20, v17, vcc
	s_cbranch_scc1 .LBB29_384
; %bb.385:
	v_mul_f32_e32 v16, 4.0, v17
	s_mov_b32 s38, 0x461c4000
	v_div_scale_f32 v17, s[34:35], s38, s38, v16
	v_rcp_f32_e32 v18, v17
	v_fma_f32 v19, -v17, v18, 1.0
	v_fmac_f32_e32 v18, v19, v18
	v_div_scale_f32 v19, vcc, v16, s38, v16
	v_mul_f32_e32 v20, v19, v18
	v_fma_f32 v21, -v17, v20, v19
	v_fmac_f32_e32 v20, v21, v18
	v_fma_f32 v17, -v17, v20, v19
	v_div_fmas_f32 v17, v17, v18, v20
	v_div_fixup_f32 v16, v17, s38, v16
.LBB29_386:
	s_or_b64 exec, exec, s[36:37]
	v_or_b32_e32 v18, 0x800, v0
	v_cmp_gt_u32_e64 s[34:35], s81, v18
                                        ; implicit-def: $vgpr17
	s_and_saveexec_b64 s[38:39], s[34:35]
	s_cbranch_execz .LBB29_390
; %bb.387:
	v_add_u32_e32 v17, s80, v18
	v_lshlrev_b32_e32 v18, 12, v17
	s_mov_b32 s36, 0x7ed55d16
	v_add3_u32 v17, v17, v18, s36
	v_lshrrev_b32_e32 v18, 19, v17
	v_xor_b32_e32 v17, v17, v18
	v_xor_b32_e32 v17, 0xc761c23c, v17
	v_lshl_add_u32 v17, v17, 5, v17
	v_mov_b32_e32 v19, 0xaccf6200
	v_add_u32_e32 v18, 0xe9f8cc1d, v17
	v_lshl_add_u32 v17, v17, 9, v19
	v_xor_b32_e32 v17, v18, v17
	v_lshlrev_b32_e32 v18, 3, v17
	s_mov_b32 s36, 0xfd7046c5
	v_add3_u32 v17, v17, v18, s36
	v_xor_b32_sdwa v17, v17, v17 dst_sel:DWORD dst_unused:UNUSED_PAD src0_sel:DWORD src1_sel:WORD_1
	v_xor_b32_e32 v17, 0xb55a4f09, v17
	v_mul_hi_u32 v18, v17, 3
	v_sub_u32_e32 v19, v17, v18
	v_lshrrev_b32_e32 v19, 1, v19
	v_add_u32_e32 v18, v19, v18
	v_lshrrev_b32_e32 v18, 30, v18
	s_brev_b32 s36, -2
	v_mul_lo_u32 v18, v18, s36
	v_sub_u32_e32 v17, v17, v18
	v_max_u32_e32 v19, 1, v17
	s_movk_i32 s40, 0x2710
	v_mov_b32_e32 v18, 0
	s_mov_b32 s41, 0xbc8f1391
	s_mov_b32 s42, 0xbc8f
	s_brev_b32 s43, 12
	s_mov_b32 s44, 0xf800000
	v_mov_b32_e32 v17, 0x260
.LBB29_388:                             ; =>This Inner Loop Header: Depth=1
	v_mul_hi_u32 v20, v19, s41
	v_lshrrev_b32_e32 v20, 15, v20
	v_mul_u32_u24_e32 v22, 0xadc8, v20
	v_sub_u32_e32 v19, v19, v22
	v_mul_u32_u24_e32 v20, 0xd47, v20
	v_mul_lo_u32 v19, v19, s42
	v_xor_b32_e32 v22, 0x7fffffff, v20
	v_sub_u32_e32 v23, 0, v20
	v_cmp_lt_u32_e32 vcc, v19, v20
	v_cndmask_b32_e32 v20, v23, v22, vcc
	v_add_u32_e32 v19, v20, v19
	v_mul_hi_u32 v22, v19, s41
	v_lshrrev_b32_e32 v22, 15, v22
	v_mul_u32_u24_e32 v23, 0xadc8, v22
	v_add_u32_e32 v20, -1, v19
	v_sub_u32_e32 v19, v19, v23
	v_mul_u32_u24_e32 v22, 0xd47, v22
	v_mul_lo_u32 v19, v19, s42
	v_xor_b32_e32 v23, 0x7fffffff, v22
	v_sub_u32_e32 v24, 0, v22
	v_cmp_lt_u32_e32 vcc, v19, v22
	v_cndmask_b32_e32 v22, v24, v23, vcc
	v_add_u32_e32 v19, v22, v19
	v_mul_hi_u32 v23, v19, s41
	v_add_u32_e32 v22, -1, v19
	v_lshrrev_b32_e32 v23, 15, v23
	v_cvt_f32_u32_e32 v22, v22
	v_mul_u32_u24_e32 v24, 0xadc8, v23
	v_cvt_f32_u32_e32 v20, v20
	v_sub_u32_e32 v19, v19, v24
	v_mul_u32_u24_e32 v23, 0xd47, v23
	v_mul_lo_u32 v19, v19, s42
	v_xor_b32_e32 v24, 0x7fffffff, v23
	v_sub_u32_e32 v25, 0, v23
	v_cmp_lt_u32_e32 vcc, v19, v23
	v_fma_f32 v22, v22, s43, 0
	v_cndmask_b32_e32 v23, v25, v24, vcc
	v_fma_f32 v20, v20, s43, 0
	v_mul_f32_e32 v22, v22, v22
	v_add_u32_e32 v19, v23, v19
	v_fmac_f32_e32 v22, v20, v20
	v_mul_hi_u32 v23, v19, s41
	v_mul_f32_e32 v24, 0x4f800000, v22
	v_lshrrev_b32_e32 v23, 15, v23
	v_cmp_gt_f32_e32 vcc, s44, v22
	v_cndmask_b32_e32 v22, v22, v24, vcc
	v_mul_u32_u24_e32 v24, 0xadc8, v23
	v_add_u32_e32 v20, -1, v19
	v_sqrt_f32_e32 v25, v22
	v_sub_u32_e32 v19, v19, v24
	v_mul_u32_u24_e32 v23, 0xd47, v23
	v_mul_lo_u32 v19, v19, s42
	v_xor_b32_e32 v24, 0x7fffffff, v23
	v_sub_u32_e32 v26, 0, v23
	v_cmp_lt_u32_e64 s[36:37], v19, v23
	v_cndmask_b32_e64 v23, v26, v24, s[36:37]
	v_add_u32_e32 v19, v23, v19
	v_add_u32_e32 v23, -1, v25
	v_add_u32_e32 v24, 1, v25
	v_add_u32_e32 v26, -1, v19
	v_fma_f32 v27, -v23, v25, v22
	v_fma_f32 v28, -v24, v25, v22
	v_cvt_f32_u32_e32 v26, v26
	v_cmp_ge_f32_e64 s[36:37], 0, v27
	v_cvt_f32_u32_e32 v20, v20
	v_cndmask_b32_e64 v23, v25, v23, s[36:37]
	v_cmp_lt_f32_e64 s[36:37], 0, v28
	v_cndmask_b32_e64 v23, v23, v24, s[36:37]
	v_mul_f32_e32 v24, 0x37800000, v23
	v_cndmask_b32_e32 v23, v23, v24, vcc
	v_fma_f32 v24, v26, s43, 0
	v_cmp_class_f32_e32 vcc, v22, v17
	v_fma_f32 v20, v20, s43, 0
	v_cndmask_b32_e32 v22, v23, v22, vcc
	v_mul_f32_e32 v23, v24, v24
	v_add_f32_e32 v21, 1.0, v18
	v_cmp_nge_f32_e32 vcc, 1.0, v22
	v_fmac_f32_e32 v23, v20, v20
	v_cndmask_b32_e32 v18, v21, v18, vcc
	v_mul_f32_e32 v20, 0x4f800000, v23
	v_cmp_gt_f32_e32 vcc, s44, v23
	v_cndmask_b32_e32 v20, v23, v20, vcc
	v_sqrt_f32_e32 v22, v20
	s_add_i32 s40, s40, -2
	v_add_f32_e32 v21, 1.0, v18
	s_cmp_lg_u32 s40, 0
	v_add_u32_e32 v23, -1, v22
	v_add_u32_e32 v24, 1, v22
	v_fma_f32 v25, -v23, v22, v20
	v_fma_f32 v26, -v24, v22, v20
	v_cmp_ge_f32_e64 s[36:37], 0, v25
	v_cndmask_b32_e64 v22, v22, v23, s[36:37]
	v_cmp_lt_f32_e64 s[36:37], 0, v26
	v_cndmask_b32_e64 v22, v22, v24, s[36:37]
	v_mul_f32_e32 v23, 0x37800000, v22
	v_cndmask_b32_e32 v22, v22, v23, vcc
	v_cmp_class_f32_e32 vcc, v20, v17
	v_cndmask_b32_e32 v20, v22, v20, vcc
	v_cmp_nge_f32_e32 vcc, 1.0, v20
	v_cndmask_b32_e32 v18, v21, v18, vcc
	s_cbranch_scc1 .LBB29_388
; %bb.389:
	v_mul_f32_e32 v17, 4.0, v18
	s_mov_b32 s40, 0x461c4000
	v_div_scale_f32 v18, s[36:37], s40, s40, v17
	v_rcp_f32_e32 v19, v18
	v_fma_f32 v20, -v18, v19, 1.0
	v_fmac_f32_e32 v19, v20, v19
	v_div_scale_f32 v20, vcc, v17, s40, v17
	v_mul_f32_e32 v21, v20, v19
	v_fma_f32 v22, -v18, v21, v20
	v_fmac_f32_e32 v21, v22, v19
	v_fma_f32 v18, -v18, v21, v20
	v_div_fmas_f32 v18, v18, v19, v21
	v_div_fixup_f32 v17, v18, s40, v17
.LBB29_390:
	s_or_b64 exec, exec, s[38:39]
	v_add_u32_e32 v19, 0x880, v0
	v_cmp_gt_u32_e64 s[36:37], s81, v19
                                        ; implicit-def: $vgpr18
	s_and_saveexec_b64 s[40:41], s[36:37]
	s_cbranch_execz .LBB29_394
; %bb.391:
	v_add_u32_e32 v18, s80, v19
	v_lshlrev_b32_e32 v19, 12, v18
	s_mov_b32 s38, 0x7ed55d16
	v_add3_u32 v18, v18, v19, s38
	v_lshrrev_b32_e32 v19, 19, v18
	v_xor_b32_e32 v18, v18, v19
	v_xor_b32_e32 v18, 0xc761c23c, v18
	v_lshl_add_u32 v18, v18, 5, v18
	v_mov_b32_e32 v20, 0xaccf6200
	v_add_u32_e32 v19, 0xe9f8cc1d, v18
	v_lshl_add_u32 v18, v18, 9, v20
	v_xor_b32_e32 v18, v19, v18
	v_lshlrev_b32_e32 v19, 3, v18
	s_mov_b32 s38, 0xfd7046c5
	v_add3_u32 v18, v18, v19, s38
	v_xor_b32_sdwa v18, v18, v18 dst_sel:DWORD dst_unused:UNUSED_PAD src0_sel:DWORD src1_sel:WORD_1
	v_xor_b32_e32 v18, 0xb55a4f09, v18
	v_mul_hi_u32 v19, v18, 3
	v_sub_u32_e32 v20, v18, v19
	v_lshrrev_b32_e32 v20, 1, v20
	v_add_u32_e32 v19, v20, v19
	v_lshrrev_b32_e32 v19, 30, v19
	s_brev_b32 s38, -2
	v_mul_lo_u32 v19, v19, s38
	v_sub_u32_e32 v18, v18, v19
	v_max_u32_e32 v20, 1, v18
	s_movk_i32 s42, 0x2710
	v_mov_b32_e32 v19, 0
	s_mov_b32 s43, 0xbc8f1391
	s_mov_b32 s44, 0xbc8f
	s_brev_b32 s45, 12
	s_mov_b32 s46, 0xf800000
	v_mov_b32_e32 v18, 0x260
.LBB29_392:                             ; =>This Inner Loop Header: Depth=1
	v_mul_hi_u32 v21, v20, s43
	v_lshrrev_b32_e32 v21, 15, v21
	v_mul_u32_u24_e32 v23, 0xadc8, v21
	v_sub_u32_e32 v20, v20, v23
	v_mul_u32_u24_e32 v21, 0xd47, v21
	v_mul_lo_u32 v20, v20, s44
	v_xor_b32_e32 v23, 0x7fffffff, v21
	v_sub_u32_e32 v24, 0, v21
	v_cmp_lt_u32_e32 vcc, v20, v21
	v_cndmask_b32_e32 v21, v24, v23, vcc
	v_add_u32_e32 v20, v21, v20
	v_mul_hi_u32 v23, v20, s43
	v_lshrrev_b32_e32 v23, 15, v23
	v_mul_u32_u24_e32 v24, 0xadc8, v23
	v_add_u32_e32 v21, -1, v20
	v_sub_u32_e32 v20, v20, v24
	v_mul_u32_u24_e32 v23, 0xd47, v23
	v_mul_lo_u32 v20, v20, s44
	v_xor_b32_e32 v24, 0x7fffffff, v23
	v_sub_u32_e32 v25, 0, v23
	v_cmp_lt_u32_e32 vcc, v20, v23
	v_cndmask_b32_e32 v23, v25, v24, vcc
	v_add_u32_e32 v20, v23, v20
	v_mul_hi_u32 v24, v20, s43
	v_add_u32_e32 v23, -1, v20
	v_lshrrev_b32_e32 v24, 15, v24
	v_cvt_f32_u32_e32 v23, v23
	v_mul_u32_u24_e32 v25, 0xadc8, v24
	v_cvt_f32_u32_e32 v21, v21
	v_sub_u32_e32 v20, v20, v25
	v_mul_u32_u24_e32 v24, 0xd47, v24
	v_mul_lo_u32 v20, v20, s44
	v_xor_b32_e32 v25, 0x7fffffff, v24
	v_sub_u32_e32 v26, 0, v24
	v_cmp_lt_u32_e32 vcc, v20, v24
	v_fma_f32 v23, v23, s45, 0
	v_cndmask_b32_e32 v24, v26, v25, vcc
	v_fma_f32 v21, v21, s45, 0
	v_mul_f32_e32 v23, v23, v23
	v_add_u32_e32 v20, v24, v20
	v_fmac_f32_e32 v23, v21, v21
	v_mul_hi_u32 v24, v20, s43
	v_mul_f32_e32 v25, 0x4f800000, v23
	v_lshrrev_b32_e32 v24, 15, v24
	v_cmp_gt_f32_e32 vcc, s46, v23
	v_cndmask_b32_e32 v23, v23, v25, vcc
	v_mul_u32_u24_e32 v25, 0xadc8, v24
	v_add_u32_e32 v21, -1, v20
	v_sqrt_f32_e32 v26, v23
	v_sub_u32_e32 v20, v20, v25
	v_mul_u32_u24_e32 v24, 0xd47, v24
	v_mul_lo_u32 v20, v20, s44
	v_xor_b32_e32 v25, 0x7fffffff, v24
	v_sub_u32_e32 v27, 0, v24
	v_cmp_lt_u32_e64 s[38:39], v20, v24
	v_cndmask_b32_e64 v24, v27, v25, s[38:39]
	v_add_u32_e32 v20, v24, v20
	v_add_u32_e32 v24, -1, v26
	v_add_u32_e32 v25, 1, v26
	v_add_u32_e32 v27, -1, v20
	v_fma_f32 v28, -v24, v26, v23
	v_fma_f32 v29, -v25, v26, v23
	v_cvt_f32_u32_e32 v27, v27
	v_cmp_ge_f32_e64 s[38:39], 0, v28
	v_cvt_f32_u32_e32 v21, v21
	v_cndmask_b32_e64 v24, v26, v24, s[38:39]
	v_cmp_lt_f32_e64 s[38:39], 0, v29
	v_cndmask_b32_e64 v24, v24, v25, s[38:39]
	v_mul_f32_e32 v25, 0x37800000, v24
	v_cndmask_b32_e32 v24, v24, v25, vcc
	v_fma_f32 v25, v27, s45, 0
	v_cmp_class_f32_e32 vcc, v23, v18
	v_fma_f32 v21, v21, s45, 0
	v_cndmask_b32_e32 v23, v24, v23, vcc
	v_mul_f32_e32 v24, v25, v25
	v_add_f32_e32 v22, 1.0, v19
	v_cmp_nge_f32_e32 vcc, 1.0, v23
	v_fmac_f32_e32 v24, v21, v21
	v_cndmask_b32_e32 v19, v22, v19, vcc
	v_mul_f32_e32 v21, 0x4f800000, v24
	v_cmp_gt_f32_e32 vcc, s46, v24
	v_cndmask_b32_e32 v21, v24, v21, vcc
	v_sqrt_f32_e32 v23, v21
	s_add_i32 s42, s42, -2
	v_add_f32_e32 v22, 1.0, v19
	s_cmp_lg_u32 s42, 0
	v_add_u32_e32 v24, -1, v23
	v_add_u32_e32 v25, 1, v23
	v_fma_f32 v26, -v24, v23, v21
	v_fma_f32 v27, -v25, v23, v21
	v_cmp_ge_f32_e64 s[38:39], 0, v26
	v_cndmask_b32_e64 v23, v23, v24, s[38:39]
	v_cmp_lt_f32_e64 s[38:39], 0, v27
	v_cndmask_b32_e64 v23, v23, v25, s[38:39]
	v_mul_f32_e32 v24, 0x37800000, v23
	v_cndmask_b32_e32 v23, v23, v24, vcc
	v_cmp_class_f32_e32 vcc, v21, v18
	v_cndmask_b32_e32 v21, v23, v21, vcc
	v_cmp_nge_f32_e32 vcc, 1.0, v21
	v_cndmask_b32_e32 v19, v22, v19, vcc
	s_cbranch_scc1 .LBB29_392
; %bb.393:
	v_mul_f32_e32 v18, 4.0, v19
	s_mov_b32 s42, 0x461c4000
	v_div_scale_f32 v19, s[38:39], s42, s42, v18
	v_rcp_f32_e32 v20, v19
	v_fma_f32 v21, -v19, v20, 1.0
	v_fmac_f32_e32 v20, v21, v20
	v_div_scale_f32 v21, vcc, v18, s42, v18
	v_mul_f32_e32 v22, v21, v20
	v_fma_f32 v23, -v19, v22, v21
	v_fmac_f32_e32 v22, v23, v20
	v_fma_f32 v19, -v19, v22, v21
	v_div_fmas_f32 v19, v19, v20, v22
	v_div_fixup_f32 v18, v19, s42, v18
.LBB29_394:
	s_or_b64 exec, exec, s[40:41]
	v_add_u32_e32 v20, 0x900, v0
	v_cmp_gt_u32_e64 s[38:39], s81, v20
                                        ; implicit-def: $vgpr19
	s_and_saveexec_b64 s[42:43], s[38:39]
	s_cbranch_execz .LBB29_398
; %bb.395:
	v_add_u32_e32 v19, s80, v20
	v_lshlrev_b32_e32 v20, 12, v19
	s_mov_b32 s40, 0x7ed55d16
	v_add3_u32 v19, v19, v20, s40
	v_lshrrev_b32_e32 v20, 19, v19
	v_xor_b32_e32 v19, v19, v20
	v_xor_b32_e32 v19, 0xc761c23c, v19
	v_lshl_add_u32 v19, v19, 5, v19
	v_mov_b32_e32 v21, 0xaccf6200
	v_add_u32_e32 v20, 0xe9f8cc1d, v19
	v_lshl_add_u32 v19, v19, 9, v21
	v_xor_b32_e32 v19, v20, v19
	v_lshlrev_b32_e32 v20, 3, v19
	s_mov_b32 s40, 0xfd7046c5
	v_add3_u32 v19, v19, v20, s40
	v_xor_b32_sdwa v19, v19, v19 dst_sel:DWORD dst_unused:UNUSED_PAD src0_sel:DWORD src1_sel:WORD_1
	v_xor_b32_e32 v19, 0xb55a4f09, v19
	v_mul_hi_u32 v20, v19, 3
	v_sub_u32_e32 v21, v19, v20
	v_lshrrev_b32_e32 v21, 1, v21
	v_add_u32_e32 v20, v21, v20
	v_lshrrev_b32_e32 v20, 30, v20
	s_brev_b32 s40, -2
	v_mul_lo_u32 v20, v20, s40
	v_sub_u32_e32 v19, v19, v20
	v_max_u32_e32 v21, 1, v19
	s_movk_i32 s44, 0x2710
	v_mov_b32_e32 v20, 0
	s_mov_b32 s45, 0xbc8f1391
	s_mov_b32 s46, 0xbc8f
	s_brev_b32 s47, 12
	s_mov_b32 s48, 0xf800000
	v_mov_b32_e32 v19, 0x260
.LBB29_396:                             ; =>This Inner Loop Header: Depth=1
	v_mul_hi_u32 v22, v21, s45
	v_lshrrev_b32_e32 v22, 15, v22
	v_mul_u32_u24_e32 v24, 0xadc8, v22
	v_sub_u32_e32 v21, v21, v24
	v_mul_u32_u24_e32 v22, 0xd47, v22
	v_mul_lo_u32 v21, v21, s46
	v_xor_b32_e32 v24, 0x7fffffff, v22
	v_sub_u32_e32 v25, 0, v22
	v_cmp_lt_u32_e32 vcc, v21, v22
	v_cndmask_b32_e32 v22, v25, v24, vcc
	v_add_u32_e32 v21, v22, v21
	v_mul_hi_u32 v24, v21, s45
	v_lshrrev_b32_e32 v24, 15, v24
	v_mul_u32_u24_e32 v25, 0xadc8, v24
	v_add_u32_e32 v22, -1, v21
	v_sub_u32_e32 v21, v21, v25
	v_mul_u32_u24_e32 v24, 0xd47, v24
	v_mul_lo_u32 v21, v21, s46
	v_xor_b32_e32 v25, 0x7fffffff, v24
	v_sub_u32_e32 v26, 0, v24
	v_cmp_lt_u32_e32 vcc, v21, v24
	v_cndmask_b32_e32 v24, v26, v25, vcc
	v_add_u32_e32 v21, v24, v21
	v_mul_hi_u32 v25, v21, s45
	v_add_u32_e32 v24, -1, v21
	v_lshrrev_b32_e32 v25, 15, v25
	v_cvt_f32_u32_e32 v24, v24
	v_mul_u32_u24_e32 v26, 0xadc8, v25
	v_cvt_f32_u32_e32 v22, v22
	v_sub_u32_e32 v21, v21, v26
	v_mul_u32_u24_e32 v25, 0xd47, v25
	v_mul_lo_u32 v21, v21, s46
	v_xor_b32_e32 v26, 0x7fffffff, v25
	v_sub_u32_e32 v27, 0, v25
	v_cmp_lt_u32_e32 vcc, v21, v25
	v_fma_f32 v24, v24, s47, 0
	v_cndmask_b32_e32 v25, v27, v26, vcc
	v_fma_f32 v22, v22, s47, 0
	v_mul_f32_e32 v24, v24, v24
	v_add_u32_e32 v21, v25, v21
	v_fmac_f32_e32 v24, v22, v22
	v_mul_hi_u32 v25, v21, s45
	v_mul_f32_e32 v26, 0x4f800000, v24
	v_lshrrev_b32_e32 v25, 15, v25
	v_cmp_gt_f32_e32 vcc, s48, v24
	v_cndmask_b32_e32 v24, v24, v26, vcc
	v_mul_u32_u24_e32 v26, 0xadc8, v25
	v_add_u32_e32 v22, -1, v21
	v_sqrt_f32_e32 v27, v24
	v_sub_u32_e32 v21, v21, v26
	v_mul_u32_u24_e32 v25, 0xd47, v25
	v_mul_lo_u32 v21, v21, s46
	v_xor_b32_e32 v26, 0x7fffffff, v25
	v_sub_u32_e32 v28, 0, v25
	v_cmp_lt_u32_e64 s[40:41], v21, v25
	v_cndmask_b32_e64 v25, v28, v26, s[40:41]
	v_add_u32_e32 v21, v25, v21
	v_add_u32_e32 v25, -1, v27
	v_add_u32_e32 v26, 1, v27
	v_add_u32_e32 v28, -1, v21
	v_fma_f32 v29, -v25, v27, v24
	v_fma_f32 v30, -v26, v27, v24
	v_cvt_f32_u32_e32 v28, v28
	v_cmp_ge_f32_e64 s[40:41], 0, v29
	v_cvt_f32_u32_e32 v22, v22
	v_cndmask_b32_e64 v25, v27, v25, s[40:41]
	v_cmp_lt_f32_e64 s[40:41], 0, v30
	v_cndmask_b32_e64 v25, v25, v26, s[40:41]
	v_mul_f32_e32 v26, 0x37800000, v25
	v_cndmask_b32_e32 v25, v25, v26, vcc
	v_fma_f32 v26, v28, s47, 0
	v_cmp_class_f32_e32 vcc, v24, v19
	v_fma_f32 v22, v22, s47, 0
	v_cndmask_b32_e32 v24, v25, v24, vcc
	v_mul_f32_e32 v25, v26, v26
	v_add_f32_e32 v23, 1.0, v20
	v_cmp_nge_f32_e32 vcc, 1.0, v24
	v_fmac_f32_e32 v25, v22, v22
	v_cndmask_b32_e32 v20, v23, v20, vcc
	v_mul_f32_e32 v22, 0x4f800000, v25
	v_cmp_gt_f32_e32 vcc, s48, v25
	v_cndmask_b32_e32 v22, v25, v22, vcc
	v_sqrt_f32_e32 v24, v22
	s_add_i32 s44, s44, -2
	v_add_f32_e32 v23, 1.0, v20
	s_cmp_lg_u32 s44, 0
	v_add_u32_e32 v25, -1, v24
	v_add_u32_e32 v26, 1, v24
	v_fma_f32 v27, -v25, v24, v22
	v_fma_f32 v28, -v26, v24, v22
	v_cmp_ge_f32_e64 s[40:41], 0, v27
	v_cndmask_b32_e64 v24, v24, v25, s[40:41]
	v_cmp_lt_f32_e64 s[40:41], 0, v28
	v_cndmask_b32_e64 v24, v24, v26, s[40:41]
	v_mul_f32_e32 v25, 0x37800000, v24
	v_cndmask_b32_e32 v24, v24, v25, vcc
	v_cmp_class_f32_e32 vcc, v22, v19
	v_cndmask_b32_e32 v22, v24, v22, vcc
	v_cmp_nge_f32_e32 vcc, 1.0, v22
	v_cndmask_b32_e32 v20, v23, v20, vcc
	s_cbranch_scc1 .LBB29_396
; %bb.397:
	v_mul_f32_e32 v19, 4.0, v20
	s_mov_b32 s44, 0x461c4000
	v_div_scale_f32 v20, s[40:41], s44, s44, v19
	v_rcp_f32_e32 v21, v20
	v_fma_f32 v22, -v20, v21, 1.0
	v_fmac_f32_e32 v21, v22, v21
	v_div_scale_f32 v22, vcc, v19, s44, v19
	v_mul_f32_e32 v23, v22, v21
	v_fma_f32 v24, -v20, v23, v22
	v_fmac_f32_e32 v23, v24, v21
	v_fma_f32 v20, -v20, v23, v22
	v_div_fmas_f32 v20, v20, v21, v23
	v_div_fixup_f32 v19, v20, s44, v19
.LBB29_398:
	s_or_b64 exec, exec, s[42:43]
	v_add_u32_e32 v21, 0x980, v0
	v_cmp_gt_u32_e64 s[40:41], s81, v21
                                        ; implicit-def: $vgpr20
	s_and_saveexec_b64 s[44:45], s[40:41]
	s_cbranch_execz .LBB29_402
; %bb.399:
	v_add_u32_e32 v20, s80, v21
	v_lshlrev_b32_e32 v21, 12, v20
	s_mov_b32 s42, 0x7ed55d16
	v_add3_u32 v20, v20, v21, s42
	v_lshrrev_b32_e32 v21, 19, v20
	v_xor_b32_e32 v20, v20, v21
	v_xor_b32_e32 v20, 0xc761c23c, v20
	v_lshl_add_u32 v20, v20, 5, v20
	v_mov_b32_e32 v22, 0xaccf6200
	v_add_u32_e32 v21, 0xe9f8cc1d, v20
	v_lshl_add_u32 v20, v20, 9, v22
	v_xor_b32_e32 v20, v21, v20
	v_lshlrev_b32_e32 v21, 3, v20
	s_mov_b32 s42, 0xfd7046c5
	v_add3_u32 v20, v20, v21, s42
	v_xor_b32_sdwa v20, v20, v20 dst_sel:DWORD dst_unused:UNUSED_PAD src0_sel:DWORD src1_sel:WORD_1
	v_xor_b32_e32 v20, 0xb55a4f09, v20
	v_mul_hi_u32 v21, v20, 3
	v_sub_u32_e32 v22, v20, v21
	v_lshrrev_b32_e32 v22, 1, v22
	v_add_u32_e32 v21, v22, v21
	v_lshrrev_b32_e32 v21, 30, v21
	s_brev_b32 s42, -2
	v_mul_lo_u32 v21, v21, s42
	v_sub_u32_e32 v20, v20, v21
	v_max_u32_e32 v22, 1, v20
	s_movk_i32 s46, 0x2710
	v_mov_b32_e32 v21, 0
	s_mov_b32 s47, 0xbc8f1391
	s_mov_b32 s48, 0xbc8f
	s_brev_b32 s49, 12
	s_mov_b32 s50, 0xf800000
	v_mov_b32_e32 v20, 0x260
.LBB29_400:                             ; =>This Inner Loop Header: Depth=1
	v_mul_hi_u32 v23, v22, s47
	v_lshrrev_b32_e32 v23, 15, v23
	v_mul_u32_u24_e32 v25, 0xadc8, v23
	v_sub_u32_e32 v22, v22, v25
	v_mul_u32_u24_e32 v23, 0xd47, v23
	v_mul_lo_u32 v22, v22, s48
	v_xor_b32_e32 v25, 0x7fffffff, v23
	v_sub_u32_e32 v26, 0, v23
	v_cmp_lt_u32_e32 vcc, v22, v23
	v_cndmask_b32_e32 v23, v26, v25, vcc
	v_add_u32_e32 v22, v23, v22
	v_mul_hi_u32 v25, v22, s47
	v_lshrrev_b32_e32 v25, 15, v25
	v_mul_u32_u24_e32 v26, 0xadc8, v25
	v_add_u32_e32 v23, -1, v22
	v_sub_u32_e32 v22, v22, v26
	v_mul_u32_u24_e32 v25, 0xd47, v25
	v_mul_lo_u32 v22, v22, s48
	v_xor_b32_e32 v26, 0x7fffffff, v25
	v_sub_u32_e32 v27, 0, v25
	v_cmp_lt_u32_e32 vcc, v22, v25
	v_cndmask_b32_e32 v25, v27, v26, vcc
	v_add_u32_e32 v22, v25, v22
	v_mul_hi_u32 v26, v22, s47
	v_add_u32_e32 v25, -1, v22
	v_lshrrev_b32_e32 v26, 15, v26
	v_cvt_f32_u32_e32 v25, v25
	v_mul_u32_u24_e32 v27, 0xadc8, v26
	v_cvt_f32_u32_e32 v23, v23
	v_sub_u32_e32 v22, v22, v27
	v_mul_u32_u24_e32 v26, 0xd47, v26
	v_mul_lo_u32 v22, v22, s48
	v_xor_b32_e32 v27, 0x7fffffff, v26
	v_sub_u32_e32 v28, 0, v26
	v_cmp_lt_u32_e32 vcc, v22, v26
	v_fma_f32 v25, v25, s49, 0
	v_cndmask_b32_e32 v26, v28, v27, vcc
	v_fma_f32 v23, v23, s49, 0
	v_mul_f32_e32 v25, v25, v25
	v_add_u32_e32 v22, v26, v22
	v_fmac_f32_e32 v25, v23, v23
	v_mul_hi_u32 v26, v22, s47
	v_mul_f32_e32 v27, 0x4f800000, v25
	v_lshrrev_b32_e32 v26, 15, v26
	v_cmp_gt_f32_e32 vcc, s50, v25
	v_cndmask_b32_e32 v25, v25, v27, vcc
	v_mul_u32_u24_e32 v27, 0xadc8, v26
	v_add_u32_e32 v23, -1, v22
	v_sqrt_f32_e32 v28, v25
	v_sub_u32_e32 v22, v22, v27
	v_mul_u32_u24_e32 v26, 0xd47, v26
	v_mul_lo_u32 v22, v22, s48
	v_xor_b32_e32 v27, 0x7fffffff, v26
	v_sub_u32_e32 v29, 0, v26
	v_cmp_lt_u32_e64 s[42:43], v22, v26
	v_cndmask_b32_e64 v26, v29, v27, s[42:43]
	v_add_u32_e32 v22, v26, v22
	v_add_u32_e32 v26, -1, v28
	v_add_u32_e32 v27, 1, v28
	v_add_u32_e32 v29, -1, v22
	v_fma_f32 v30, -v26, v28, v25
	v_fma_f32 v31, -v27, v28, v25
	v_cvt_f32_u32_e32 v29, v29
	v_cmp_ge_f32_e64 s[42:43], 0, v30
	v_cvt_f32_u32_e32 v23, v23
	v_cndmask_b32_e64 v26, v28, v26, s[42:43]
	v_cmp_lt_f32_e64 s[42:43], 0, v31
	v_cndmask_b32_e64 v26, v26, v27, s[42:43]
	v_mul_f32_e32 v27, 0x37800000, v26
	v_cndmask_b32_e32 v26, v26, v27, vcc
	v_fma_f32 v27, v29, s49, 0
	v_cmp_class_f32_e32 vcc, v25, v20
	v_fma_f32 v23, v23, s49, 0
	v_cndmask_b32_e32 v25, v26, v25, vcc
	v_mul_f32_e32 v26, v27, v27
	v_add_f32_e32 v24, 1.0, v21
	v_cmp_nge_f32_e32 vcc, 1.0, v25
	v_fmac_f32_e32 v26, v23, v23
	v_cndmask_b32_e32 v21, v24, v21, vcc
	v_mul_f32_e32 v23, 0x4f800000, v26
	v_cmp_gt_f32_e32 vcc, s50, v26
	v_cndmask_b32_e32 v23, v26, v23, vcc
	v_sqrt_f32_e32 v25, v23
	s_add_i32 s46, s46, -2
	v_add_f32_e32 v24, 1.0, v21
	s_cmp_lg_u32 s46, 0
	v_add_u32_e32 v26, -1, v25
	v_add_u32_e32 v27, 1, v25
	v_fma_f32 v28, -v26, v25, v23
	v_fma_f32 v29, -v27, v25, v23
	v_cmp_ge_f32_e64 s[42:43], 0, v28
	v_cndmask_b32_e64 v25, v25, v26, s[42:43]
	v_cmp_lt_f32_e64 s[42:43], 0, v29
	v_cndmask_b32_e64 v25, v25, v27, s[42:43]
	v_mul_f32_e32 v26, 0x37800000, v25
	v_cndmask_b32_e32 v25, v25, v26, vcc
	v_cmp_class_f32_e32 vcc, v23, v20
	v_cndmask_b32_e32 v23, v25, v23, vcc
	v_cmp_nge_f32_e32 vcc, 1.0, v23
	v_cndmask_b32_e32 v21, v24, v21, vcc
	s_cbranch_scc1 .LBB29_400
; %bb.401:
	v_mul_f32_e32 v20, 4.0, v21
	s_mov_b32 s46, 0x461c4000
	v_div_scale_f32 v21, s[42:43], s46, s46, v20
	v_rcp_f32_e32 v22, v21
	v_fma_f32 v23, -v21, v22, 1.0
	v_fmac_f32_e32 v22, v23, v22
	v_div_scale_f32 v23, vcc, v20, s46, v20
	v_mul_f32_e32 v24, v23, v22
	v_fma_f32 v25, -v21, v24, v23
	v_fmac_f32_e32 v24, v25, v22
	v_fma_f32 v21, -v21, v24, v23
	v_div_fmas_f32 v21, v21, v22, v24
	v_div_fixup_f32 v20, v21, s46, v20
.LBB29_402:
	s_or_b64 exec, exec, s[44:45]
	v_add_u32_e32 v22, 0xa00, v0
	v_cmp_gt_u32_e64 s[42:43], s81, v22
                                        ; implicit-def: $vgpr21
	s_and_saveexec_b64 s[46:47], s[42:43]
	s_cbranch_execz .LBB29_406
; %bb.403:
	v_add_u32_e32 v21, s80, v22
	v_lshlrev_b32_e32 v22, 12, v21
	s_mov_b32 s44, 0x7ed55d16
	v_add3_u32 v21, v21, v22, s44
	v_lshrrev_b32_e32 v22, 19, v21
	v_xor_b32_e32 v21, v21, v22
	v_xor_b32_e32 v21, 0xc761c23c, v21
	v_lshl_add_u32 v21, v21, 5, v21
	v_mov_b32_e32 v23, 0xaccf6200
	v_add_u32_e32 v22, 0xe9f8cc1d, v21
	v_lshl_add_u32 v21, v21, 9, v23
	v_xor_b32_e32 v21, v22, v21
	v_lshlrev_b32_e32 v22, 3, v21
	s_mov_b32 s44, 0xfd7046c5
	v_add3_u32 v21, v21, v22, s44
	v_xor_b32_sdwa v21, v21, v21 dst_sel:DWORD dst_unused:UNUSED_PAD src0_sel:DWORD src1_sel:WORD_1
	v_xor_b32_e32 v21, 0xb55a4f09, v21
	v_mul_hi_u32 v22, v21, 3
	v_sub_u32_e32 v23, v21, v22
	v_lshrrev_b32_e32 v23, 1, v23
	v_add_u32_e32 v22, v23, v22
	v_lshrrev_b32_e32 v22, 30, v22
	s_brev_b32 s44, -2
	v_mul_lo_u32 v22, v22, s44
	v_sub_u32_e32 v21, v21, v22
	v_max_u32_e32 v23, 1, v21
	s_movk_i32 s48, 0x2710
	v_mov_b32_e32 v22, 0
	s_mov_b32 s49, 0xbc8f1391
	s_mov_b32 s50, 0xbc8f
	s_brev_b32 s51, 12
	s_mov_b32 s52, 0xf800000
	v_mov_b32_e32 v21, 0x260
.LBB29_404:                             ; =>This Inner Loop Header: Depth=1
	v_mul_hi_u32 v24, v23, s49
	v_lshrrev_b32_e32 v24, 15, v24
	v_mul_u32_u24_e32 v26, 0xadc8, v24
	v_sub_u32_e32 v23, v23, v26
	v_mul_u32_u24_e32 v24, 0xd47, v24
	v_mul_lo_u32 v23, v23, s50
	v_xor_b32_e32 v26, 0x7fffffff, v24
	v_sub_u32_e32 v27, 0, v24
	v_cmp_lt_u32_e32 vcc, v23, v24
	v_cndmask_b32_e32 v24, v27, v26, vcc
	v_add_u32_e32 v23, v24, v23
	v_mul_hi_u32 v26, v23, s49
	v_lshrrev_b32_e32 v26, 15, v26
	v_mul_u32_u24_e32 v27, 0xadc8, v26
	v_add_u32_e32 v24, -1, v23
	v_sub_u32_e32 v23, v23, v27
	v_mul_u32_u24_e32 v26, 0xd47, v26
	v_mul_lo_u32 v23, v23, s50
	v_xor_b32_e32 v27, 0x7fffffff, v26
	v_sub_u32_e32 v28, 0, v26
	v_cmp_lt_u32_e32 vcc, v23, v26
	v_cndmask_b32_e32 v26, v28, v27, vcc
	v_add_u32_e32 v23, v26, v23
	v_mul_hi_u32 v27, v23, s49
	v_add_u32_e32 v26, -1, v23
	v_lshrrev_b32_e32 v27, 15, v27
	v_cvt_f32_u32_e32 v26, v26
	v_mul_u32_u24_e32 v28, 0xadc8, v27
	v_cvt_f32_u32_e32 v24, v24
	v_sub_u32_e32 v23, v23, v28
	v_mul_u32_u24_e32 v27, 0xd47, v27
	v_mul_lo_u32 v23, v23, s50
	v_xor_b32_e32 v28, 0x7fffffff, v27
	v_sub_u32_e32 v29, 0, v27
	v_cmp_lt_u32_e32 vcc, v23, v27
	v_fma_f32 v26, v26, s51, 0
	v_cndmask_b32_e32 v27, v29, v28, vcc
	v_fma_f32 v24, v24, s51, 0
	v_mul_f32_e32 v26, v26, v26
	v_add_u32_e32 v23, v27, v23
	v_fmac_f32_e32 v26, v24, v24
	v_mul_hi_u32 v27, v23, s49
	v_mul_f32_e32 v28, 0x4f800000, v26
	v_lshrrev_b32_e32 v27, 15, v27
	v_cmp_gt_f32_e32 vcc, s52, v26
	v_cndmask_b32_e32 v26, v26, v28, vcc
	v_mul_u32_u24_e32 v28, 0xadc8, v27
	v_add_u32_e32 v24, -1, v23
	v_sqrt_f32_e32 v29, v26
	v_sub_u32_e32 v23, v23, v28
	v_mul_u32_u24_e32 v27, 0xd47, v27
	v_mul_lo_u32 v23, v23, s50
	v_xor_b32_e32 v28, 0x7fffffff, v27
	v_sub_u32_e32 v30, 0, v27
	v_cmp_lt_u32_e64 s[44:45], v23, v27
	v_cndmask_b32_e64 v27, v30, v28, s[44:45]
	v_add_u32_e32 v23, v27, v23
	v_add_u32_e32 v27, -1, v29
	v_add_u32_e32 v28, 1, v29
	v_add_u32_e32 v30, -1, v23
	v_fma_f32 v31, -v27, v29, v26
	v_fma_f32 v32, -v28, v29, v26
	v_cvt_f32_u32_e32 v30, v30
	v_cmp_ge_f32_e64 s[44:45], 0, v31
	v_cvt_f32_u32_e32 v24, v24
	v_cndmask_b32_e64 v27, v29, v27, s[44:45]
	v_cmp_lt_f32_e64 s[44:45], 0, v32
	v_cndmask_b32_e64 v27, v27, v28, s[44:45]
	v_mul_f32_e32 v28, 0x37800000, v27
	v_cndmask_b32_e32 v27, v27, v28, vcc
	v_fma_f32 v28, v30, s51, 0
	v_cmp_class_f32_e32 vcc, v26, v21
	v_fma_f32 v24, v24, s51, 0
	v_cndmask_b32_e32 v26, v27, v26, vcc
	v_mul_f32_e32 v27, v28, v28
	v_add_f32_e32 v25, 1.0, v22
	v_cmp_nge_f32_e32 vcc, 1.0, v26
	v_fmac_f32_e32 v27, v24, v24
	v_cndmask_b32_e32 v22, v25, v22, vcc
	v_mul_f32_e32 v24, 0x4f800000, v27
	v_cmp_gt_f32_e32 vcc, s52, v27
	v_cndmask_b32_e32 v24, v27, v24, vcc
	v_sqrt_f32_e32 v26, v24
	s_add_i32 s48, s48, -2
	v_add_f32_e32 v25, 1.0, v22
	s_cmp_lg_u32 s48, 0
	v_add_u32_e32 v27, -1, v26
	v_add_u32_e32 v28, 1, v26
	v_fma_f32 v29, -v27, v26, v24
	v_fma_f32 v30, -v28, v26, v24
	v_cmp_ge_f32_e64 s[44:45], 0, v29
	v_cndmask_b32_e64 v26, v26, v27, s[44:45]
	v_cmp_lt_f32_e64 s[44:45], 0, v30
	v_cndmask_b32_e64 v26, v26, v28, s[44:45]
	v_mul_f32_e32 v27, 0x37800000, v26
	v_cndmask_b32_e32 v26, v26, v27, vcc
	v_cmp_class_f32_e32 vcc, v24, v21
	v_cndmask_b32_e32 v24, v26, v24, vcc
	v_cmp_nge_f32_e32 vcc, 1.0, v24
	v_cndmask_b32_e32 v22, v25, v22, vcc
	s_cbranch_scc1 .LBB29_404
; %bb.405:
	v_mul_f32_e32 v21, 4.0, v22
	s_mov_b32 s48, 0x461c4000
	v_div_scale_f32 v22, s[44:45], s48, s48, v21
	v_rcp_f32_e32 v23, v22
	v_fma_f32 v24, -v22, v23, 1.0
	v_fmac_f32_e32 v23, v24, v23
	v_div_scale_f32 v24, vcc, v21, s48, v21
	v_mul_f32_e32 v25, v24, v23
	v_fma_f32 v26, -v22, v25, v24
	v_fmac_f32_e32 v25, v26, v23
	v_fma_f32 v22, -v22, v25, v24
	v_div_fmas_f32 v22, v22, v23, v25
	v_div_fixup_f32 v21, v22, s48, v21
.LBB29_406:
	s_or_b64 exec, exec, s[46:47]
	v_add_u32_e32 v23, 0xa80, v0
	v_cmp_gt_u32_e64 s[44:45], s81, v23
                                        ; implicit-def: $vgpr22
	s_and_saveexec_b64 s[48:49], s[44:45]
	s_cbranch_execz .LBB29_410
; %bb.407:
	v_add_u32_e32 v22, s80, v23
	v_lshlrev_b32_e32 v23, 12, v22
	s_mov_b32 s46, 0x7ed55d16
	v_add3_u32 v22, v22, v23, s46
	v_lshrrev_b32_e32 v23, 19, v22
	v_xor_b32_e32 v22, v22, v23
	v_xor_b32_e32 v22, 0xc761c23c, v22
	v_lshl_add_u32 v22, v22, 5, v22
	v_mov_b32_e32 v24, 0xaccf6200
	v_add_u32_e32 v23, 0xe9f8cc1d, v22
	v_lshl_add_u32 v22, v22, 9, v24
	v_xor_b32_e32 v22, v23, v22
	v_lshlrev_b32_e32 v23, 3, v22
	s_mov_b32 s46, 0xfd7046c5
	v_add3_u32 v22, v22, v23, s46
	v_xor_b32_sdwa v22, v22, v22 dst_sel:DWORD dst_unused:UNUSED_PAD src0_sel:DWORD src1_sel:WORD_1
	v_xor_b32_e32 v22, 0xb55a4f09, v22
	v_mul_hi_u32 v23, v22, 3
	v_sub_u32_e32 v24, v22, v23
	v_lshrrev_b32_e32 v24, 1, v24
	v_add_u32_e32 v23, v24, v23
	v_lshrrev_b32_e32 v23, 30, v23
	s_brev_b32 s46, -2
	v_mul_lo_u32 v23, v23, s46
	v_sub_u32_e32 v22, v22, v23
	v_max_u32_e32 v24, 1, v22
	s_movk_i32 s50, 0x2710
	v_mov_b32_e32 v23, 0
	s_mov_b32 s51, 0xbc8f1391
	s_mov_b32 s52, 0xbc8f
	s_brev_b32 s53, 12
	s_mov_b32 s54, 0xf800000
	v_mov_b32_e32 v22, 0x260
.LBB29_408:                             ; =>This Inner Loop Header: Depth=1
	v_mul_hi_u32 v25, v24, s51
	v_lshrrev_b32_e32 v25, 15, v25
	v_mul_u32_u24_e32 v27, 0xadc8, v25
	v_sub_u32_e32 v24, v24, v27
	v_mul_u32_u24_e32 v25, 0xd47, v25
	v_mul_lo_u32 v24, v24, s52
	v_xor_b32_e32 v27, 0x7fffffff, v25
	v_sub_u32_e32 v28, 0, v25
	v_cmp_lt_u32_e32 vcc, v24, v25
	v_cndmask_b32_e32 v25, v28, v27, vcc
	v_add_u32_e32 v24, v25, v24
	v_mul_hi_u32 v27, v24, s51
	v_lshrrev_b32_e32 v27, 15, v27
	v_mul_u32_u24_e32 v28, 0xadc8, v27
	v_add_u32_e32 v25, -1, v24
	v_sub_u32_e32 v24, v24, v28
	v_mul_u32_u24_e32 v27, 0xd47, v27
	v_mul_lo_u32 v24, v24, s52
	v_xor_b32_e32 v28, 0x7fffffff, v27
	v_sub_u32_e32 v29, 0, v27
	v_cmp_lt_u32_e32 vcc, v24, v27
	v_cndmask_b32_e32 v27, v29, v28, vcc
	v_add_u32_e32 v24, v27, v24
	v_mul_hi_u32 v28, v24, s51
	v_add_u32_e32 v27, -1, v24
	v_lshrrev_b32_e32 v28, 15, v28
	v_cvt_f32_u32_e32 v27, v27
	v_mul_u32_u24_e32 v29, 0xadc8, v28
	v_cvt_f32_u32_e32 v25, v25
	v_sub_u32_e32 v24, v24, v29
	v_mul_u32_u24_e32 v28, 0xd47, v28
	v_mul_lo_u32 v24, v24, s52
	v_xor_b32_e32 v29, 0x7fffffff, v28
	v_sub_u32_e32 v30, 0, v28
	v_cmp_lt_u32_e32 vcc, v24, v28
	v_fma_f32 v27, v27, s53, 0
	v_cndmask_b32_e32 v28, v30, v29, vcc
	v_fma_f32 v25, v25, s53, 0
	v_mul_f32_e32 v27, v27, v27
	v_add_u32_e32 v24, v28, v24
	v_fmac_f32_e32 v27, v25, v25
	v_mul_hi_u32 v28, v24, s51
	v_mul_f32_e32 v29, 0x4f800000, v27
	v_lshrrev_b32_e32 v28, 15, v28
	v_cmp_gt_f32_e32 vcc, s54, v27
	v_cndmask_b32_e32 v27, v27, v29, vcc
	v_mul_u32_u24_e32 v29, 0xadc8, v28
	v_add_u32_e32 v25, -1, v24
	v_sqrt_f32_e32 v30, v27
	v_sub_u32_e32 v24, v24, v29
	v_mul_u32_u24_e32 v28, 0xd47, v28
	v_mul_lo_u32 v24, v24, s52
	v_xor_b32_e32 v29, 0x7fffffff, v28
	v_sub_u32_e32 v31, 0, v28
	v_cmp_lt_u32_e64 s[46:47], v24, v28
	v_cndmask_b32_e64 v28, v31, v29, s[46:47]
	v_add_u32_e32 v24, v28, v24
	v_add_u32_e32 v28, -1, v30
	v_add_u32_e32 v29, 1, v30
	v_add_u32_e32 v31, -1, v24
	v_fma_f32 v32, -v28, v30, v27
	v_fma_f32 v33, -v29, v30, v27
	v_cvt_f32_u32_e32 v31, v31
	v_cmp_ge_f32_e64 s[46:47], 0, v32
	v_cvt_f32_u32_e32 v25, v25
	v_cndmask_b32_e64 v28, v30, v28, s[46:47]
	v_cmp_lt_f32_e64 s[46:47], 0, v33
	v_cndmask_b32_e64 v28, v28, v29, s[46:47]
	v_mul_f32_e32 v29, 0x37800000, v28
	v_cndmask_b32_e32 v28, v28, v29, vcc
	v_fma_f32 v29, v31, s53, 0
	v_cmp_class_f32_e32 vcc, v27, v22
	v_fma_f32 v25, v25, s53, 0
	v_cndmask_b32_e32 v27, v28, v27, vcc
	v_mul_f32_e32 v28, v29, v29
	v_add_f32_e32 v26, 1.0, v23
	v_cmp_nge_f32_e32 vcc, 1.0, v27
	v_fmac_f32_e32 v28, v25, v25
	v_cndmask_b32_e32 v23, v26, v23, vcc
	v_mul_f32_e32 v25, 0x4f800000, v28
	v_cmp_gt_f32_e32 vcc, s54, v28
	v_cndmask_b32_e32 v25, v28, v25, vcc
	v_sqrt_f32_e32 v27, v25
	s_add_i32 s50, s50, -2
	v_add_f32_e32 v26, 1.0, v23
	s_cmp_lg_u32 s50, 0
	v_add_u32_e32 v28, -1, v27
	v_add_u32_e32 v29, 1, v27
	v_fma_f32 v30, -v28, v27, v25
	v_fma_f32 v31, -v29, v27, v25
	v_cmp_ge_f32_e64 s[46:47], 0, v30
	v_cndmask_b32_e64 v27, v27, v28, s[46:47]
	v_cmp_lt_f32_e64 s[46:47], 0, v31
	v_cndmask_b32_e64 v27, v27, v29, s[46:47]
	v_mul_f32_e32 v28, 0x37800000, v27
	v_cndmask_b32_e32 v27, v27, v28, vcc
	v_cmp_class_f32_e32 vcc, v25, v22
	v_cndmask_b32_e32 v25, v27, v25, vcc
	v_cmp_nge_f32_e32 vcc, 1.0, v25
	v_cndmask_b32_e32 v23, v26, v23, vcc
	s_cbranch_scc1 .LBB29_408
; %bb.409:
	v_mul_f32_e32 v22, 4.0, v23
	s_mov_b32 s50, 0x461c4000
	v_div_scale_f32 v23, s[46:47], s50, s50, v22
	v_rcp_f32_e32 v24, v23
	v_fma_f32 v25, -v23, v24, 1.0
	v_fmac_f32_e32 v24, v25, v24
	v_div_scale_f32 v25, vcc, v22, s50, v22
	v_mul_f32_e32 v26, v25, v24
	v_fma_f32 v27, -v23, v26, v25
	v_fmac_f32_e32 v26, v27, v24
	v_fma_f32 v23, -v23, v26, v25
	v_div_fmas_f32 v23, v23, v24, v26
	v_div_fixup_f32 v22, v23, s50, v22
.LBB29_410:
	s_or_b64 exec, exec, s[48:49]
	v_add_u32_e32 v24, 0xb00, v0
	v_cmp_gt_u32_e64 s[46:47], s81, v24
                                        ; implicit-def: $vgpr23
	s_and_saveexec_b64 s[50:51], s[46:47]
	s_cbranch_execz .LBB29_414
; %bb.411:
	v_add_u32_e32 v23, s80, v24
	v_lshlrev_b32_e32 v24, 12, v23
	s_mov_b32 s48, 0x7ed55d16
	v_add3_u32 v23, v23, v24, s48
	v_lshrrev_b32_e32 v24, 19, v23
	v_xor_b32_e32 v23, v23, v24
	v_xor_b32_e32 v23, 0xc761c23c, v23
	v_lshl_add_u32 v23, v23, 5, v23
	v_mov_b32_e32 v25, 0xaccf6200
	v_add_u32_e32 v24, 0xe9f8cc1d, v23
	v_lshl_add_u32 v23, v23, 9, v25
	v_xor_b32_e32 v23, v24, v23
	v_lshlrev_b32_e32 v24, 3, v23
	s_mov_b32 s48, 0xfd7046c5
	v_add3_u32 v23, v23, v24, s48
	v_xor_b32_sdwa v23, v23, v23 dst_sel:DWORD dst_unused:UNUSED_PAD src0_sel:DWORD src1_sel:WORD_1
	v_xor_b32_e32 v23, 0xb55a4f09, v23
	v_mul_hi_u32 v24, v23, 3
	v_sub_u32_e32 v25, v23, v24
	v_lshrrev_b32_e32 v25, 1, v25
	v_add_u32_e32 v24, v25, v24
	v_lshrrev_b32_e32 v24, 30, v24
	s_brev_b32 s48, -2
	v_mul_lo_u32 v24, v24, s48
	v_sub_u32_e32 v23, v23, v24
	v_max_u32_e32 v25, 1, v23
	s_movk_i32 s52, 0x2710
	v_mov_b32_e32 v24, 0
	s_mov_b32 s53, 0xbc8f1391
	s_mov_b32 s54, 0xbc8f
	s_brev_b32 s55, 12
	s_mov_b32 s56, 0xf800000
	v_mov_b32_e32 v23, 0x260
.LBB29_412:                             ; =>This Inner Loop Header: Depth=1
	v_mul_hi_u32 v26, v25, s53
	v_lshrrev_b32_e32 v26, 15, v26
	v_mul_u32_u24_e32 v28, 0xadc8, v26
	v_sub_u32_e32 v25, v25, v28
	v_mul_u32_u24_e32 v26, 0xd47, v26
	v_mul_lo_u32 v25, v25, s54
	v_xor_b32_e32 v28, 0x7fffffff, v26
	v_sub_u32_e32 v29, 0, v26
	v_cmp_lt_u32_e32 vcc, v25, v26
	v_cndmask_b32_e32 v26, v29, v28, vcc
	v_add_u32_e32 v25, v26, v25
	v_mul_hi_u32 v28, v25, s53
	v_lshrrev_b32_e32 v28, 15, v28
	v_mul_u32_u24_e32 v29, 0xadc8, v28
	v_add_u32_e32 v26, -1, v25
	v_sub_u32_e32 v25, v25, v29
	v_mul_u32_u24_e32 v28, 0xd47, v28
	v_mul_lo_u32 v25, v25, s54
	v_xor_b32_e32 v29, 0x7fffffff, v28
	v_sub_u32_e32 v30, 0, v28
	v_cmp_lt_u32_e32 vcc, v25, v28
	v_cndmask_b32_e32 v28, v30, v29, vcc
	v_add_u32_e32 v25, v28, v25
	v_mul_hi_u32 v29, v25, s53
	v_add_u32_e32 v28, -1, v25
	v_lshrrev_b32_e32 v29, 15, v29
	v_cvt_f32_u32_e32 v28, v28
	v_mul_u32_u24_e32 v30, 0xadc8, v29
	v_cvt_f32_u32_e32 v26, v26
	v_sub_u32_e32 v25, v25, v30
	v_mul_u32_u24_e32 v29, 0xd47, v29
	v_mul_lo_u32 v25, v25, s54
	v_xor_b32_e32 v30, 0x7fffffff, v29
	v_sub_u32_e32 v31, 0, v29
	v_cmp_lt_u32_e32 vcc, v25, v29
	v_fma_f32 v28, v28, s55, 0
	v_cndmask_b32_e32 v29, v31, v30, vcc
	v_fma_f32 v26, v26, s55, 0
	v_mul_f32_e32 v28, v28, v28
	v_add_u32_e32 v25, v29, v25
	v_fmac_f32_e32 v28, v26, v26
	v_mul_hi_u32 v29, v25, s53
	v_mul_f32_e32 v30, 0x4f800000, v28
	v_lshrrev_b32_e32 v29, 15, v29
	v_cmp_gt_f32_e32 vcc, s56, v28
	v_cndmask_b32_e32 v28, v28, v30, vcc
	v_mul_u32_u24_e32 v30, 0xadc8, v29
	v_add_u32_e32 v26, -1, v25
	v_sqrt_f32_e32 v31, v28
	v_sub_u32_e32 v25, v25, v30
	v_mul_u32_u24_e32 v29, 0xd47, v29
	v_mul_lo_u32 v25, v25, s54
	v_xor_b32_e32 v30, 0x7fffffff, v29
	v_sub_u32_e32 v32, 0, v29
	v_cmp_lt_u32_e64 s[48:49], v25, v29
	v_cndmask_b32_e64 v29, v32, v30, s[48:49]
	v_add_u32_e32 v25, v29, v25
	v_add_u32_e32 v29, -1, v31
	v_add_u32_e32 v30, 1, v31
	v_add_u32_e32 v32, -1, v25
	v_fma_f32 v33, -v29, v31, v28
	v_fma_f32 v34, -v30, v31, v28
	v_cvt_f32_u32_e32 v32, v32
	v_cmp_ge_f32_e64 s[48:49], 0, v33
	v_cvt_f32_u32_e32 v26, v26
	v_cndmask_b32_e64 v29, v31, v29, s[48:49]
	v_cmp_lt_f32_e64 s[48:49], 0, v34
	v_cndmask_b32_e64 v29, v29, v30, s[48:49]
	v_mul_f32_e32 v30, 0x37800000, v29
	v_cndmask_b32_e32 v29, v29, v30, vcc
	v_fma_f32 v30, v32, s55, 0
	v_cmp_class_f32_e32 vcc, v28, v23
	v_fma_f32 v26, v26, s55, 0
	v_cndmask_b32_e32 v28, v29, v28, vcc
	v_mul_f32_e32 v29, v30, v30
	v_add_f32_e32 v27, 1.0, v24
	v_cmp_nge_f32_e32 vcc, 1.0, v28
	v_fmac_f32_e32 v29, v26, v26
	v_cndmask_b32_e32 v24, v27, v24, vcc
	v_mul_f32_e32 v26, 0x4f800000, v29
	v_cmp_gt_f32_e32 vcc, s56, v29
	v_cndmask_b32_e32 v26, v29, v26, vcc
	v_sqrt_f32_e32 v28, v26
	s_add_i32 s52, s52, -2
	v_add_f32_e32 v27, 1.0, v24
	s_cmp_lg_u32 s52, 0
	v_add_u32_e32 v29, -1, v28
	v_add_u32_e32 v30, 1, v28
	v_fma_f32 v31, -v29, v28, v26
	v_fma_f32 v32, -v30, v28, v26
	v_cmp_ge_f32_e64 s[48:49], 0, v31
	v_cndmask_b32_e64 v28, v28, v29, s[48:49]
	v_cmp_lt_f32_e64 s[48:49], 0, v32
	v_cndmask_b32_e64 v28, v28, v30, s[48:49]
	v_mul_f32_e32 v29, 0x37800000, v28
	v_cndmask_b32_e32 v28, v28, v29, vcc
	v_cmp_class_f32_e32 vcc, v26, v23
	v_cndmask_b32_e32 v26, v28, v26, vcc
	v_cmp_nge_f32_e32 vcc, 1.0, v26
	v_cndmask_b32_e32 v24, v27, v24, vcc
	s_cbranch_scc1 .LBB29_412
; %bb.413:
	v_mul_f32_e32 v23, 4.0, v24
	s_mov_b32 s52, 0x461c4000
	v_div_scale_f32 v24, s[48:49], s52, s52, v23
	v_rcp_f32_e32 v25, v24
	v_fma_f32 v26, -v24, v25, 1.0
	v_fmac_f32_e32 v25, v26, v25
	v_div_scale_f32 v26, vcc, v23, s52, v23
	v_mul_f32_e32 v27, v26, v25
	v_fma_f32 v28, -v24, v27, v26
	v_fmac_f32_e32 v27, v28, v25
	v_fma_f32 v24, -v24, v27, v26
	v_div_fmas_f32 v24, v24, v25, v27
	v_div_fixup_f32 v23, v24, s52, v23
.LBB29_414:
	s_or_b64 exec, exec, s[50:51]
	v_add_u32_e32 v25, 0xb80, v0
	v_cmp_gt_u32_e64 s[48:49], s81, v25
                                        ; implicit-def: $vgpr24
	s_and_saveexec_b64 s[52:53], s[48:49]
	s_cbranch_execz .LBB29_418
; %bb.415:
	v_add_u32_e32 v24, s80, v25
	v_lshlrev_b32_e32 v25, 12, v24
	s_mov_b32 s50, 0x7ed55d16
	v_add3_u32 v24, v24, v25, s50
	v_lshrrev_b32_e32 v25, 19, v24
	v_xor_b32_e32 v24, v24, v25
	v_xor_b32_e32 v24, 0xc761c23c, v24
	v_lshl_add_u32 v24, v24, 5, v24
	v_mov_b32_e32 v26, 0xaccf6200
	v_add_u32_e32 v25, 0xe9f8cc1d, v24
	v_lshl_add_u32 v24, v24, 9, v26
	v_xor_b32_e32 v24, v25, v24
	v_lshlrev_b32_e32 v25, 3, v24
	s_mov_b32 s50, 0xfd7046c5
	v_add3_u32 v24, v24, v25, s50
	v_xor_b32_sdwa v24, v24, v24 dst_sel:DWORD dst_unused:UNUSED_PAD src0_sel:DWORD src1_sel:WORD_1
	v_xor_b32_e32 v24, 0xb55a4f09, v24
	v_mul_hi_u32 v25, v24, 3
	v_sub_u32_e32 v26, v24, v25
	v_lshrrev_b32_e32 v26, 1, v26
	v_add_u32_e32 v25, v26, v25
	v_lshrrev_b32_e32 v25, 30, v25
	s_brev_b32 s50, -2
	v_mul_lo_u32 v25, v25, s50
	v_sub_u32_e32 v24, v24, v25
	v_max_u32_e32 v26, 1, v24
	s_movk_i32 s54, 0x2710
	v_mov_b32_e32 v25, 0
	s_mov_b32 s55, 0xbc8f1391
	s_mov_b32 s56, 0xbc8f
	s_brev_b32 s57, 12
	s_mov_b32 s58, 0xf800000
	v_mov_b32_e32 v24, 0x260
.LBB29_416:                             ; =>This Inner Loop Header: Depth=1
	v_mul_hi_u32 v27, v26, s55
	v_lshrrev_b32_e32 v27, 15, v27
	v_mul_u32_u24_e32 v29, 0xadc8, v27
	v_sub_u32_e32 v26, v26, v29
	v_mul_u32_u24_e32 v27, 0xd47, v27
	v_mul_lo_u32 v26, v26, s56
	v_xor_b32_e32 v29, 0x7fffffff, v27
	v_sub_u32_e32 v30, 0, v27
	v_cmp_lt_u32_e32 vcc, v26, v27
	v_cndmask_b32_e32 v27, v30, v29, vcc
	v_add_u32_e32 v26, v27, v26
	v_mul_hi_u32 v29, v26, s55
	v_lshrrev_b32_e32 v29, 15, v29
	v_mul_u32_u24_e32 v30, 0xadc8, v29
	v_add_u32_e32 v27, -1, v26
	v_sub_u32_e32 v26, v26, v30
	v_mul_u32_u24_e32 v29, 0xd47, v29
	v_mul_lo_u32 v26, v26, s56
	v_xor_b32_e32 v30, 0x7fffffff, v29
	v_sub_u32_e32 v31, 0, v29
	v_cmp_lt_u32_e32 vcc, v26, v29
	v_cndmask_b32_e32 v29, v31, v30, vcc
	v_add_u32_e32 v26, v29, v26
	v_mul_hi_u32 v30, v26, s55
	v_add_u32_e32 v29, -1, v26
	v_lshrrev_b32_e32 v30, 15, v30
	v_cvt_f32_u32_e32 v29, v29
	v_mul_u32_u24_e32 v31, 0xadc8, v30
	v_cvt_f32_u32_e32 v27, v27
	v_sub_u32_e32 v26, v26, v31
	v_mul_u32_u24_e32 v30, 0xd47, v30
	v_mul_lo_u32 v26, v26, s56
	v_xor_b32_e32 v31, 0x7fffffff, v30
	v_sub_u32_e32 v32, 0, v30
	v_cmp_lt_u32_e32 vcc, v26, v30
	v_fma_f32 v29, v29, s57, 0
	v_cndmask_b32_e32 v30, v32, v31, vcc
	v_fma_f32 v27, v27, s57, 0
	v_mul_f32_e32 v29, v29, v29
	v_add_u32_e32 v26, v30, v26
	v_fmac_f32_e32 v29, v27, v27
	v_mul_hi_u32 v30, v26, s55
	v_mul_f32_e32 v31, 0x4f800000, v29
	v_lshrrev_b32_e32 v30, 15, v30
	v_cmp_gt_f32_e32 vcc, s58, v29
	v_cndmask_b32_e32 v29, v29, v31, vcc
	v_mul_u32_u24_e32 v31, 0xadc8, v30
	v_add_u32_e32 v27, -1, v26
	v_sqrt_f32_e32 v32, v29
	v_sub_u32_e32 v26, v26, v31
	v_mul_u32_u24_e32 v30, 0xd47, v30
	v_mul_lo_u32 v26, v26, s56
	v_xor_b32_e32 v31, 0x7fffffff, v30
	v_sub_u32_e32 v33, 0, v30
	v_cmp_lt_u32_e64 s[50:51], v26, v30
	v_cndmask_b32_e64 v30, v33, v31, s[50:51]
	v_add_u32_e32 v26, v30, v26
	v_add_u32_e32 v30, -1, v32
	v_add_u32_e32 v31, 1, v32
	v_add_u32_e32 v33, -1, v26
	v_fma_f32 v34, -v30, v32, v29
	v_fma_f32 v35, -v31, v32, v29
	v_cvt_f32_u32_e32 v33, v33
	v_cmp_ge_f32_e64 s[50:51], 0, v34
	v_cvt_f32_u32_e32 v27, v27
	v_cndmask_b32_e64 v30, v32, v30, s[50:51]
	v_cmp_lt_f32_e64 s[50:51], 0, v35
	v_cndmask_b32_e64 v30, v30, v31, s[50:51]
	v_mul_f32_e32 v31, 0x37800000, v30
	v_cndmask_b32_e32 v30, v30, v31, vcc
	v_fma_f32 v31, v33, s57, 0
	v_cmp_class_f32_e32 vcc, v29, v24
	v_fma_f32 v27, v27, s57, 0
	v_cndmask_b32_e32 v29, v30, v29, vcc
	v_mul_f32_e32 v30, v31, v31
	v_add_f32_e32 v28, 1.0, v25
	v_cmp_nge_f32_e32 vcc, 1.0, v29
	v_fmac_f32_e32 v30, v27, v27
	v_cndmask_b32_e32 v25, v28, v25, vcc
	v_mul_f32_e32 v27, 0x4f800000, v30
	v_cmp_gt_f32_e32 vcc, s58, v30
	v_cndmask_b32_e32 v27, v30, v27, vcc
	v_sqrt_f32_e32 v29, v27
	s_add_i32 s54, s54, -2
	v_add_f32_e32 v28, 1.0, v25
	s_cmp_lg_u32 s54, 0
	v_add_u32_e32 v30, -1, v29
	v_add_u32_e32 v31, 1, v29
	v_fma_f32 v32, -v30, v29, v27
	v_fma_f32 v33, -v31, v29, v27
	v_cmp_ge_f32_e64 s[50:51], 0, v32
	v_cndmask_b32_e64 v29, v29, v30, s[50:51]
	v_cmp_lt_f32_e64 s[50:51], 0, v33
	v_cndmask_b32_e64 v29, v29, v31, s[50:51]
	v_mul_f32_e32 v30, 0x37800000, v29
	v_cndmask_b32_e32 v29, v29, v30, vcc
	v_cmp_class_f32_e32 vcc, v27, v24
	v_cndmask_b32_e32 v27, v29, v27, vcc
	v_cmp_nge_f32_e32 vcc, 1.0, v27
	v_cndmask_b32_e32 v25, v28, v25, vcc
	s_cbranch_scc1 .LBB29_416
; %bb.417:
	v_mul_f32_e32 v24, 4.0, v25
	s_mov_b32 s54, 0x461c4000
	v_div_scale_f32 v25, s[50:51], s54, s54, v24
	v_rcp_f32_e32 v26, v25
	v_fma_f32 v27, -v25, v26, 1.0
	v_fmac_f32_e32 v26, v27, v26
	v_div_scale_f32 v27, vcc, v24, s54, v24
	v_mul_f32_e32 v28, v27, v26
	v_fma_f32 v29, -v25, v28, v27
	v_fmac_f32_e32 v28, v29, v26
	v_fma_f32 v25, -v25, v28, v27
	v_div_fmas_f32 v25, v25, v26, v28
	v_div_fixup_f32 v24, v25, s54, v24
.LBB29_418:
	s_or_b64 exec, exec, s[52:53]
	v_or_b32_e32 v26, 0xc00, v0
	v_cmp_gt_u32_e64 s[50:51], s81, v26
                                        ; implicit-def: $vgpr25
	s_and_saveexec_b64 s[54:55], s[50:51]
	s_cbranch_execz .LBB29_422
; %bb.419:
	v_add_u32_e32 v25, s80, v26
	v_lshlrev_b32_e32 v26, 12, v25
	s_mov_b32 s52, 0x7ed55d16
	v_add3_u32 v25, v25, v26, s52
	v_lshrrev_b32_e32 v26, 19, v25
	v_xor_b32_e32 v25, v25, v26
	v_xor_b32_e32 v25, 0xc761c23c, v25
	v_lshl_add_u32 v25, v25, 5, v25
	v_mov_b32_e32 v27, 0xaccf6200
	v_add_u32_e32 v26, 0xe9f8cc1d, v25
	v_lshl_add_u32 v25, v25, 9, v27
	v_xor_b32_e32 v25, v26, v25
	v_lshlrev_b32_e32 v26, 3, v25
	s_mov_b32 s52, 0xfd7046c5
	v_add3_u32 v25, v25, v26, s52
	v_xor_b32_sdwa v25, v25, v25 dst_sel:DWORD dst_unused:UNUSED_PAD src0_sel:DWORD src1_sel:WORD_1
	v_xor_b32_e32 v25, 0xb55a4f09, v25
	v_mul_hi_u32 v26, v25, 3
	v_sub_u32_e32 v27, v25, v26
	v_lshrrev_b32_e32 v27, 1, v27
	v_add_u32_e32 v26, v27, v26
	v_lshrrev_b32_e32 v26, 30, v26
	s_brev_b32 s52, -2
	v_mul_lo_u32 v26, v26, s52
	v_sub_u32_e32 v25, v25, v26
	v_max_u32_e32 v27, 1, v25
	s_movk_i32 s56, 0x2710
	v_mov_b32_e32 v26, 0
	s_mov_b32 s57, 0xbc8f1391
	s_mov_b32 s58, 0xbc8f
	s_brev_b32 s59, 12
	s_mov_b32 s60, 0xf800000
	v_mov_b32_e32 v25, 0x260
.LBB29_420:                             ; =>This Inner Loop Header: Depth=1
	v_mul_hi_u32 v28, v27, s57
	v_lshrrev_b32_e32 v28, 15, v28
	v_mul_u32_u24_e32 v30, 0xadc8, v28
	v_sub_u32_e32 v27, v27, v30
	v_mul_u32_u24_e32 v28, 0xd47, v28
	v_mul_lo_u32 v27, v27, s58
	v_xor_b32_e32 v30, 0x7fffffff, v28
	v_sub_u32_e32 v31, 0, v28
	v_cmp_lt_u32_e32 vcc, v27, v28
	v_cndmask_b32_e32 v28, v31, v30, vcc
	v_add_u32_e32 v27, v28, v27
	v_mul_hi_u32 v30, v27, s57
	v_lshrrev_b32_e32 v30, 15, v30
	v_mul_u32_u24_e32 v31, 0xadc8, v30
	v_add_u32_e32 v28, -1, v27
	v_sub_u32_e32 v27, v27, v31
	v_mul_u32_u24_e32 v30, 0xd47, v30
	v_mul_lo_u32 v27, v27, s58
	v_xor_b32_e32 v31, 0x7fffffff, v30
	v_sub_u32_e32 v32, 0, v30
	v_cmp_lt_u32_e32 vcc, v27, v30
	v_cndmask_b32_e32 v30, v32, v31, vcc
	v_add_u32_e32 v27, v30, v27
	v_mul_hi_u32 v31, v27, s57
	v_add_u32_e32 v30, -1, v27
	v_lshrrev_b32_e32 v31, 15, v31
	v_cvt_f32_u32_e32 v30, v30
	v_mul_u32_u24_e32 v32, 0xadc8, v31
	v_cvt_f32_u32_e32 v28, v28
	v_sub_u32_e32 v27, v27, v32
	v_mul_u32_u24_e32 v31, 0xd47, v31
	v_mul_lo_u32 v27, v27, s58
	v_xor_b32_e32 v32, 0x7fffffff, v31
	v_sub_u32_e32 v33, 0, v31
	v_cmp_lt_u32_e32 vcc, v27, v31
	v_fma_f32 v30, v30, s59, 0
	v_cndmask_b32_e32 v31, v33, v32, vcc
	v_fma_f32 v28, v28, s59, 0
	v_mul_f32_e32 v30, v30, v30
	v_add_u32_e32 v27, v31, v27
	v_fmac_f32_e32 v30, v28, v28
	v_mul_hi_u32 v31, v27, s57
	v_mul_f32_e32 v32, 0x4f800000, v30
	v_lshrrev_b32_e32 v31, 15, v31
	v_cmp_gt_f32_e32 vcc, s60, v30
	v_cndmask_b32_e32 v30, v30, v32, vcc
	v_mul_u32_u24_e32 v32, 0xadc8, v31
	v_add_u32_e32 v28, -1, v27
	v_sqrt_f32_e32 v33, v30
	v_sub_u32_e32 v27, v27, v32
	v_mul_u32_u24_e32 v31, 0xd47, v31
	v_mul_lo_u32 v27, v27, s58
	v_xor_b32_e32 v32, 0x7fffffff, v31
	v_sub_u32_e32 v34, 0, v31
	v_cmp_lt_u32_e64 s[52:53], v27, v31
	v_cndmask_b32_e64 v31, v34, v32, s[52:53]
	v_add_u32_e32 v27, v31, v27
	v_add_u32_e32 v31, -1, v33
	v_add_u32_e32 v32, 1, v33
	v_add_u32_e32 v34, -1, v27
	v_fma_f32 v35, -v31, v33, v30
	v_fma_f32 v36, -v32, v33, v30
	v_cvt_f32_u32_e32 v34, v34
	v_cmp_ge_f32_e64 s[52:53], 0, v35
	v_cvt_f32_u32_e32 v28, v28
	v_cndmask_b32_e64 v31, v33, v31, s[52:53]
	v_cmp_lt_f32_e64 s[52:53], 0, v36
	v_cndmask_b32_e64 v31, v31, v32, s[52:53]
	v_mul_f32_e32 v32, 0x37800000, v31
	v_cndmask_b32_e32 v31, v31, v32, vcc
	v_fma_f32 v32, v34, s59, 0
	v_cmp_class_f32_e32 vcc, v30, v25
	v_fma_f32 v28, v28, s59, 0
	v_cndmask_b32_e32 v30, v31, v30, vcc
	v_mul_f32_e32 v31, v32, v32
	v_add_f32_e32 v29, 1.0, v26
	v_cmp_nge_f32_e32 vcc, 1.0, v30
	v_fmac_f32_e32 v31, v28, v28
	v_cndmask_b32_e32 v26, v29, v26, vcc
	v_mul_f32_e32 v28, 0x4f800000, v31
	v_cmp_gt_f32_e32 vcc, s60, v31
	v_cndmask_b32_e32 v28, v31, v28, vcc
	v_sqrt_f32_e32 v30, v28
	s_add_i32 s56, s56, -2
	v_add_f32_e32 v29, 1.0, v26
	s_cmp_lg_u32 s56, 0
	v_add_u32_e32 v31, -1, v30
	v_add_u32_e32 v32, 1, v30
	v_fma_f32 v33, -v31, v30, v28
	v_fma_f32 v34, -v32, v30, v28
	v_cmp_ge_f32_e64 s[52:53], 0, v33
	v_cndmask_b32_e64 v30, v30, v31, s[52:53]
	v_cmp_lt_f32_e64 s[52:53], 0, v34
	v_cndmask_b32_e64 v30, v30, v32, s[52:53]
	v_mul_f32_e32 v31, 0x37800000, v30
	v_cndmask_b32_e32 v30, v30, v31, vcc
	v_cmp_class_f32_e32 vcc, v28, v25
	v_cndmask_b32_e32 v28, v30, v28, vcc
	v_cmp_nge_f32_e32 vcc, 1.0, v28
	v_cndmask_b32_e32 v26, v29, v26, vcc
	s_cbranch_scc1 .LBB29_420
; %bb.421:
	v_mul_f32_e32 v25, 4.0, v26
	s_mov_b32 s56, 0x461c4000
	v_div_scale_f32 v26, s[52:53], s56, s56, v25
	v_rcp_f32_e32 v27, v26
	v_fma_f32 v28, -v26, v27, 1.0
	v_fmac_f32_e32 v27, v28, v27
	v_div_scale_f32 v28, vcc, v25, s56, v25
	v_mul_f32_e32 v29, v28, v27
	v_fma_f32 v30, -v26, v29, v28
	v_fmac_f32_e32 v29, v30, v27
	v_fma_f32 v26, -v26, v29, v28
	v_div_fmas_f32 v26, v26, v27, v29
	v_div_fixup_f32 v25, v26, s56, v25
.LBB29_422:
	s_or_b64 exec, exec, s[54:55]
	v_add_u32_e32 v27, 0xc80, v0
	v_cmp_gt_u32_e64 s[52:53], s81, v27
                                        ; implicit-def: $vgpr26
	s_and_saveexec_b64 s[56:57], s[52:53]
	s_cbranch_execz .LBB29_426
; %bb.423:
	v_add_u32_e32 v26, s80, v27
	v_lshlrev_b32_e32 v27, 12, v26
	s_mov_b32 s54, 0x7ed55d16
	v_add3_u32 v26, v26, v27, s54
	v_lshrrev_b32_e32 v27, 19, v26
	v_xor_b32_e32 v26, v26, v27
	v_xor_b32_e32 v26, 0xc761c23c, v26
	v_lshl_add_u32 v26, v26, 5, v26
	v_mov_b32_e32 v28, 0xaccf6200
	v_add_u32_e32 v27, 0xe9f8cc1d, v26
	v_lshl_add_u32 v26, v26, 9, v28
	v_xor_b32_e32 v26, v27, v26
	v_lshlrev_b32_e32 v27, 3, v26
	s_mov_b32 s54, 0xfd7046c5
	v_add3_u32 v26, v26, v27, s54
	v_xor_b32_sdwa v26, v26, v26 dst_sel:DWORD dst_unused:UNUSED_PAD src0_sel:DWORD src1_sel:WORD_1
	v_xor_b32_e32 v26, 0xb55a4f09, v26
	v_mul_hi_u32 v27, v26, 3
	v_sub_u32_e32 v28, v26, v27
	v_lshrrev_b32_e32 v28, 1, v28
	v_add_u32_e32 v27, v28, v27
	v_lshrrev_b32_e32 v27, 30, v27
	s_brev_b32 s54, -2
	v_mul_lo_u32 v27, v27, s54
	v_sub_u32_e32 v26, v26, v27
	v_max_u32_e32 v28, 1, v26
	s_movk_i32 s58, 0x2710
	v_mov_b32_e32 v27, 0
	s_mov_b32 s59, 0xbc8f1391
	s_mov_b32 s60, 0xbc8f
	s_brev_b32 s61, 12
	s_mov_b32 s62, 0xf800000
	v_mov_b32_e32 v26, 0x260
.LBB29_424:                             ; =>This Inner Loop Header: Depth=1
	v_mul_hi_u32 v29, v28, s59
	v_lshrrev_b32_e32 v29, 15, v29
	v_mul_u32_u24_e32 v31, 0xadc8, v29
	v_sub_u32_e32 v28, v28, v31
	v_mul_u32_u24_e32 v29, 0xd47, v29
	v_mul_lo_u32 v28, v28, s60
	v_xor_b32_e32 v31, 0x7fffffff, v29
	v_sub_u32_e32 v32, 0, v29
	v_cmp_lt_u32_e32 vcc, v28, v29
	v_cndmask_b32_e32 v29, v32, v31, vcc
	v_add_u32_e32 v28, v29, v28
	v_mul_hi_u32 v31, v28, s59
	v_lshrrev_b32_e32 v31, 15, v31
	v_mul_u32_u24_e32 v32, 0xadc8, v31
	v_add_u32_e32 v29, -1, v28
	v_sub_u32_e32 v28, v28, v32
	v_mul_u32_u24_e32 v31, 0xd47, v31
	v_mul_lo_u32 v28, v28, s60
	v_xor_b32_e32 v32, 0x7fffffff, v31
	v_sub_u32_e32 v33, 0, v31
	v_cmp_lt_u32_e32 vcc, v28, v31
	v_cndmask_b32_e32 v31, v33, v32, vcc
	v_add_u32_e32 v28, v31, v28
	v_mul_hi_u32 v32, v28, s59
	v_add_u32_e32 v31, -1, v28
	v_lshrrev_b32_e32 v32, 15, v32
	v_cvt_f32_u32_e32 v31, v31
	v_mul_u32_u24_e32 v33, 0xadc8, v32
	v_cvt_f32_u32_e32 v29, v29
	v_sub_u32_e32 v28, v28, v33
	v_mul_u32_u24_e32 v32, 0xd47, v32
	v_mul_lo_u32 v28, v28, s60
	v_xor_b32_e32 v33, 0x7fffffff, v32
	v_sub_u32_e32 v34, 0, v32
	v_cmp_lt_u32_e32 vcc, v28, v32
	v_fma_f32 v31, v31, s61, 0
	v_cndmask_b32_e32 v32, v34, v33, vcc
	v_fma_f32 v29, v29, s61, 0
	v_mul_f32_e32 v31, v31, v31
	v_add_u32_e32 v28, v32, v28
	v_fmac_f32_e32 v31, v29, v29
	v_mul_hi_u32 v32, v28, s59
	v_mul_f32_e32 v33, 0x4f800000, v31
	v_lshrrev_b32_e32 v32, 15, v32
	v_cmp_gt_f32_e32 vcc, s62, v31
	v_cndmask_b32_e32 v31, v31, v33, vcc
	v_mul_u32_u24_e32 v33, 0xadc8, v32
	v_add_u32_e32 v29, -1, v28
	v_sqrt_f32_e32 v34, v31
	v_sub_u32_e32 v28, v28, v33
	v_mul_u32_u24_e32 v32, 0xd47, v32
	v_mul_lo_u32 v28, v28, s60
	v_xor_b32_e32 v33, 0x7fffffff, v32
	v_sub_u32_e32 v35, 0, v32
	v_cmp_lt_u32_e64 s[54:55], v28, v32
	v_cndmask_b32_e64 v32, v35, v33, s[54:55]
	v_add_u32_e32 v28, v32, v28
	v_add_u32_e32 v32, -1, v34
	v_add_u32_e32 v33, 1, v34
	v_add_u32_e32 v35, -1, v28
	v_fma_f32 v36, -v32, v34, v31
	v_fma_f32 v37, -v33, v34, v31
	v_cvt_f32_u32_e32 v35, v35
	v_cmp_ge_f32_e64 s[54:55], 0, v36
	v_cvt_f32_u32_e32 v29, v29
	v_cndmask_b32_e64 v32, v34, v32, s[54:55]
	v_cmp_lt_f32_e64 s[54:55], 0, v37
	v_cndmask_b32_e64 v32, v32, v33, s[54:55]
	v_mul_f32_e32 v33, 0x37800000, v32
	v_cndmask_b32_e32 v32, v32, v33, vcc
	v_fma_f32 v33, v35, s61, 0
	v_cmp_class_f32_e32 vcc, v31, v26
	v_fma_f32 v29, v29, s61, 0
	v_cndmask_b32_e32 v31, v32, v31, vcc
	v_mul_f32_e32 v32, v33, v33
	v_add_f32_e32 v30, 1.0, v27
	v_cmp_nge_f32_e32 vcc, 1.0, v31
	v_fmac_f32_e32 v32, v29, v29
	v_cndmask_b32_e32 v27, v30, v27, vcc
	v_mul_f32_e32 v29, 0x4f800000, v32
	v_cmp_gt_f32_e32 vcc, s62, v32
	v_cndmask_b32_e32 v29, v32, v29, vcc
	v_sqrt_f32_e32 v31, v29
	s_add_i32 s58, s58, -2
	v_add_f32_e32 v30, 1.0, v27
	s_cmp_lg_u32 s58, 0
	v_add_u32_e32 v32, -1, v31
	v_add_u32_e32 v33, 1, v31
	v_fma_f32 v34, -v32, v31, v29
	v_fma_f32 v35, -v33, v31, v29
	v_cmp_ge_f32_e64 s[54:55], 0, v34
	v_cndmask_b32_e64 v31, v31, v32, s[54:55]
	v_cmp_lt_f32_e64 s[54:55], 0, v35
	v_cndmask_b32_e64 v31, v31, v33, s[54:55]
	v_mul_f32_e32 v32, 0x37800000, v31
	v_cndmask_b32_e32 v31, v31, v32, vcc
	v_cmp_class_f32_e32 vcc, v29, v26
	v_cndmask_b32_e32 v29, v31, v29, vcc
	v_cmp_nge_f32_e32 vcc, 1.0, v29
	v_cndmask_b32_e32 v27, v30, v27, vcc
	s_cbranch_scc1 .LBB29_424
; %bb.425:
	v_mul_f32_e32 v26, 4.0, v27
	s_mov_b32 s58, 0x461c4000
	v_div_scale_f32 v27, s[54:55], s58, s58, v26
	v_rcp_f32_e32 v28, v27
	v_fma_f32 v29, -v27, v28, 1.0
	v_fmac_f32_e32 v28, v29, v28
	v_div_scale_f32 v29, vcc, v26, s58, v26
	v_mul_f32_e32 v30, v29, v28
	v_fma_f32 v31, -v27, v30, v29
	v_fmac_f32_e32 v30, v31, v28
	v_fma_f32 v27, -v27, v30, v29
	v_div_fmas_f32 v27, v27, v28, v30
	v_div_fixup_f32 v26, v27, s58, v26
.LBB29_426:
	s_or_b64 exec, exec, s[56:57]
	v_add_u32_e32 v28, 0xd00, v0
	v_cmp_gt_u32_e64 s[54:55], s81, v28
                                        ; implicit-def: $vgpr27
	s_and_saveexec_b64 s[58:59], s[54:55]
	s_cbranch_execz .LBB29_430
; %bb.427:
	v_add_u32_e32 v27, s80, v28
	v_lshlrev_b32_e32 v28, 12, v27
	s_mov_b32 s56, 0x7ed55d16
	v_add3_u32 v27, v27, v28, s56
	v_lshrrev_b32_e32 v28, 19, v27
	v_xor_b32_e32 v27, v27, v28
	v_xor_b32_e32 v27, 0xc761c23c, v27
	v_lshl_add_u32 v27, v27, 5, v27
	v_mov_b32_e32 v29, 0xaccf6200
	v_add_u32_e32 v28, 0xe9f8cc1d, v27
	v_lshl_add_u32 v27, v27, 9, v29
	v_xor_b32_e32 v27, v28, v27
	v_lshlrev_b32_e32 v28, 3, v27
	s_mov_b32 s56, 0xfd7046c5
	v_add3_u32 v27, v27, v28, s56
	v_xor_b32_sdwa v27, v27, v27 dst_sel:DWORD dst_unused:UNUSED_PAD src0_sel:DWORD src1_sel:WORD_1
	v_xor_b32_e32 v27, 0xb55a4f09, v27
	v_mul_hi_u32 v28, v27, 3
	v_sub_u32_e32 v29, v27, v28
	v_lshrrev_b32_e32 v29, 1, v29
	v_add_u32_e32 v28, v29, v28
	v_lshrrev_b32_e32 v28, 30, v28
	s_brev_b32 s56, -2
	v_mul_lo_u32 v28, v28, s56
	v_sub_u32_e32 v27, v27, v28
	v_max_u32_e32 v29, 1, v27
	s_movk_i32 s60, 0x2710
	v_mov_b32_e32 v28, 0
	s_mov_b32 s61, 0xbc8f1391
	s_mov_b32 s62, 0xbc8f
	s_brev_b32 s63, 12
	s_mov_b32 s64, 0xf800000
	v_mov_b32_e32 v27, 0x260
.LBB29_428:                             ; =>This Inner Loop Header: Depth=1
	v_mul_hi_u32 v30, v29, s61
	v_lshrrev_b32_e32 v30, 15, v30
	v_mul_u32_u24_e32 v32, 0xadc8, v30
	v_sub_u32_e32 v29, v29, v32
	v_mul_u32_u24_e32 v30, 0xd47, v30
	v_mul_lo_u32 v29, v29, s62
	v_xor_b32_e32 v32, 0x7fffffff, v30
	v_sub_u32_e32 v33, 0, v30
	v_cmp_lt_u32_e32 vcc, v29, v30
	v_cndmask_b32_e32 v30, v33, v32, vcc
	v_add_u32_e32 v29, v30, v29
	v_mul_hi_u32 v32, v29, s61
	v_lshrrev_b32_e32 v32, 15, v32
	v_mul_u32_u24_e32 v33, 0xadc8, v32
	v_add_u32_e32 v30, -1, v29
	v_sub_u32_e32 v29, v29, v33
	v_mul_u32_u24_e32 v32, 0xd47, v32
	v_mul_lo_u32 v29, v29, s62
	v_xor_b32_e32 v33, 0x7fffffff, v32
	v_sub_u32_e32 v34, 0, v32
	v_cmp_lt_u32_e32 vcc, v29, v32
	v_cndmask_b32_e32 v32, v34, v33, vcc
	v_add_u32_e32 v29, v32, v29
	v_mul_hi_u32 v33, v29, s61
	v_add_u32_e32 v32, -1, v29
	v_lshrrev_b32_e32 v33, 15, v33
	v_cvt_f32_u32_e32 v32, v32
	v_mul_u32_u24_e32 v34, 0xadc8, v33
	v_cvt_f32_u32_e32 v30, v30
	v_sub_u32_e32 v29, v29, v34
	v_mul_u32_u24_e32 v33, 0xd47, v33
	v_mul_lo_u32 v29, v29, s62
	v_xor_b32_e32 v34, 0x7fffffff, v33
	v_sub_u32_e32 v35, 0, v33
	v_cmp_lt_u32_e32 vcc, v29, v33
	v_fma_f32 v32, v32, s63, 0
	v_cndmask_b32_e32 v33, v35, v34, vcc
	v_fma_f32 v30, v30, s63, 0
	v_mul_f32_e32 v32, v32, v32
	v_add_u32_e32 v29, v33, v29
	v_fmac_f32_e32 v32, v30, v30
	v_mul_hi_u32 v33, v29, s61
	v_mul_f32_e32 v34, 0x4f800000, v32
	v_lshrrev_b32_e32 v33, 15, v33
	v_cmp_gt_f32_e32 vcc, s64, v32
	v_cndmask_b32_e32 v32, v32, v34, vcc
	v_mul_u32_u24_e32 v34, 0xadc8, v33
	v_add_u32_e32 v30, -1, v29
	v_sqrt_f32_e32 v35, v32
	v_sub_u32_e32 v29, v29, v34
	v_mul_u32_u24_e32 v33, 0xd47, v33
	v_mul_lo_u32 v29, v29, s62
	v_xor_b32_e32 v34, 0x7fffffff, v33
	v_sub_u32_e32 v36, 0, v33
	v_cmp_lt_u32_e64 s[56:57], v29, v33
	v_cndmask_b32_e64 v33, v36, v34, s[56:57]
	v_add_u32_e32 v29, v33, v29
	v_add_u32_e32 v33, -1, v35
	v_add_u32_e32 v34, 1, v35
	v_add_u32_e32 v36, -1, v29
	v_fma_f32 v37, -v33, v35, v32
	v_fma_f32 v38, -v34, v35, v32
	v_cvt_f32_u32_e32 v36, v36
	v_cmp_ge_f32_e64 s[56:57], 0, v37
	v_cvt_f32_u32_e32 v30, v30
	v_cndmask_b32_e64 v33, v35, v33, s[56:57]
	v_cmp_lt_f32_e64 s[56:57], 0, v38
	v_cndmask_b32_e64 v33, v33, v34, s[56:57]
	v_mul_f32_e32 v34, 0x37800000, v33
	v_cndmask_b32_e32 v33, v33, v34, vcc
	v_fma_f32 v34, v36, s63, 0
	v_cmp_class_f32_e32 vcc, v32, v27
	v_fma_f32 v30, v30, s63, 0
	v_cndmask_b32_e32 v32, v33, v32, vcc
	v_mul_f32_e32 v33, v34, v34
	v_add_f32_e32 v31, 1.0, v28
	v_cmp_nge_f32_e32 vcc, 1.0, v32
	v_fmac_f32_e32 v33, v30, v30
	v_cndmask_b32_e32 v28, v31, v28, vcc
	v_mul_f32_e32 v30, 0x4f800000, v33
	v_cmp_gt_f32_e32 vcc, s64, v33
	v_cndmask_b32_e32 v30, v33, v30, vcc
	v_sqrt_f32_e32 v32, v30
	s_add_i32 s60, s60, -2
	v_add_f32_e32 v31, 1.0, v28
	s_cmp_lg_u32 s60, 0
	v_add_u32_e32 v33, -1, v32
	v_add_u32_e32 v34, 1, v32
	v_fma_f32 v35, -v33, v32, v30
	v_fma_f32 v36, -v34, v32, v30
	v_cmp_ge_f32_e64 s[56:57], 0, v35
	v_cndmask_b32_e64 v32, v32, v33, s[56:57]
	v_cmp_lt_f32_e64 s[56:57], 0, v36
	v_cndmask_b32_e64 v32, v32, v34, s[56:57]
	v_mul_f32_e32 v33, 0x37800000, v32
	v_cndmask_b32_e32 v32, v32, v33, vcc
	v_cmp_class_f32_e32 vcc, v30, v27
	v_cndmask_b32_e32 v30, v32, v30, vcc
	v_cmp_nge_f32_e32 vcc, 1.0, v30
	v_cndmask_b32_e32 v28, v31, v28, vcc
	s_cbranch_scc1 .LBB29_428
; %bb.429:
	v_mul_f32_e32 v27, 4.0, v28
	s_mov_b32 s60, 0x461c4000
	v_div_scale_f32 v28, s[56:57], s60, s60, v27
	v_rcp_f32_e32 v29, v28
	v_fma_f32 v30, -v28, v29, 1.0
	v_fmac_f32_e32 v29, v30, v29
	v_div_scale_f32 v30, vcc, v27, s60, v27
	v_mul_f32_e32 v31, v30, v29
	v_fma_f32 v32, -v28, v31, v30
	v_fmac_f32_e32 v31, v32, v29
	v_fma_f32 v28, -v28, v31, v30
	v_div_fmas_f32 v28, v28, v29, v31
	v_div_fixup_f32 v27, v28, s60, v27
.LBB29_430:
	s_or_b64 exec, exec, s[58:59]
	v_add_u32_e32 v29, 0xd80, v0
	v_cmp_gt_u32_e64 s[56:57], s81, v29
                                        ; implicit-def: $vgpr28
	s_and_saveexec_b64 s[60:61], s[56:57]
	s_cbranch_execz .LBB29_434
; %bb.431:
	v_add_u32_e32 v28, s80, v29
	v_lshlrev_b32_e32 v29, 12, v28
	s_mov_b32 s58, 0x7ed55d16
	v_add3_u32 v28, v28, v29, s58
	v_lshrrev_b32_e32 v29, 19, v28
	v_xor_b32_e32 v28, v28, v29
	v_xor_b32_e32 v28, 0xc761c23c, v28
	v_lshl_add_u32 v28, v28, 5, v28
	v_mov_b32_e32 v30, 0xaccf6200
	v_add_u32_e32 v29, 0xe9f8cc1d, v28
	v_lshl_add_u32 v28, v28, 9, v30
	v_xor_b32_e32 v28, v29, v28
	v_lshlrev_b32_e32 v29, 3, v28
	s_mov_b32 s58, 0xfd7046c5
	v_add3_u32 v28, v28, v29, s58
	v_xor_b32_sdwa v28, v28, v28 dst_sel:DWORD dst_unused:UNUSED_PAD src0_sel:DWORD src1_sel:WORD_1
	v_xor_b32_e32 v28, 0xb55a4f09, v28
	v_mul_hi_u32 v29, v28, 3
	v_sub_u32_e32 v30, v28, v29
	v_lshrrev_b32_e32 v30, 1, v30
	v_add_u32_e32 v29, v30, v29
	v_lshrrev_b32_e32 v29, 30, v29
	s_brev_b32 s58, -2
	v_mul_lo_u32 v29, v29, s58
	v_sub_u32_e32 v28, v28, v29
	v_max_u32_e32 v30, 1, v28
	s_movk_i32 s62, 0x2710
	v_mov_b32_e32 v29, 0
	s_mov_b32 s63, 0xbc8f1391
	s_mov_b32 s64, 0xbc8f
	s_brev_b32 s65, 12
	s_mov_b32 s66, 0xf800000
	v_mov_b32_e32 v28, 0x260
.LBB29_432:                             ; =>This Inner Loop Header: Depth=1
	v_mul_hi_u32 v31, v30, s63
	v_lshrrev_b32_e32 v31, 15, v31
	v_mul_u32_u24_e32 v33, 0xadc8, v31
	v_sub_u32_e32 v30, v30, v33
	v_mul_u32_u24_e32 v31, 0xd47, v31
	v_mul_lo_u32 v30, v30, s64
	v_xor_b32_e32 v33, 0x7fffffff, v31
	v_sub_u32_e32 v34, 0, v31
	v_cmp_lt_u32_e32 vcc, v30, v31
	v_cndmask_b32_e32 v31, v34, v33, vcc
	v_add_u32_e32 v30, v31, v30
	v_mul_hi_u32 v33, v30, s63
	v_lshrrev_b32_e32 v33, 15, v33
	v_mul_u32_u24_e32 v34, 0xadc8, v33
	v_add_u32_e32 v31, -1, v30
	v_sub_u32_e32 v30, v30, v34
	v_mul_u32_u24_e32 v33, 0xd47, v33
	v_mul_lo_u32 v30, v30, s64
	v_xor_b32_e32 v34, 0x7fffffff, v33
	v_sub_u32_e32 v35, 0, v33
	v_cmp_lt_u32_e32 vcc, v30, v33
	v_cndmask_b32_e32 v33, v35, v34, vcc
	v_add_u32_e32 v30, v33, v30
	v_mul_hi_u32 v34, v30, s63
	v_add_u32_e32 v33, -1, v30
	v_lshrrev_b32_e32 v34, 15, v34
	v_cvt_f32_u32_e32 v33, v33
	v_mul_u32_u24_e32 v35, 0xadc8, v34
	v_cvt_f32_u32_e32 v31, v31
	v_sub_u32_e32 v30, v30, v35
	v_mul_u32_u24_e32 v34, 0xd47, v34
	v_mul_lo_u32 v30, v30, s64
	v_xor_b32_e32 v35, 0x7fffffff, v34
	v_sub_u32_e32 v36, 0, v34
	v_cmp_lt_u32_e32 vcc, v30, v34
	v_fma_f32 v33, v33, s65, 0
	v_cndmask_b32_e32 v34, v36, v35, vcc
	v_fma_f32 v31, v31, s65, 0
	v_mul_f32_e32 v33, v33, v33
	v_add_u32_e32 v30, v34, v30
	v_fmac_f32_e32 v33, v31, v31
	v_mul_hi_u32 v34, v30, s63
	v_mul_f32_e32 v35, 0x4f800000, v33
	v_lshrrev_b32_e32 v34, 15, v34
	v_cmp_gt_f32_e32 vcc, s66, v33
	v_cndmask_b32_e32 v33, v33, v35, vcc
	v_mul_u32_u24_e32 v35, 0xadc8, v34
	v_add_u32_e32 v31, -1, v30
	v_sqrt_f32_e32 v36, v33
	v_sub_u32_e32 v30, v30, v35
	v_mul_u32_u24_e32 v34, 0xd47, v34
	v_mul_lo_u32 v30, v30, s64
	v_xor_b32_e32 v35, 0x7fffffff, v34
	v_sub_u32_e32 v37, 0, v34
	v_cmp_lt_u32_e64 s[58:59], v30, v34
	v_cndmask_b32_e64 v34, v37, v35, s[58:59]
	v_add_u32_e32 v30, v34, v30
	v_add_u32_e32 v34, -1, v36
	v_add_u32_e32 v35, 1, v36
	v_add_u32_e32 v37, -1, v30
	v_fma_f32 v38, -v34, v36, v33
	v_fma_f32 v39, -v35, v36, v33
	v_cvt_f32_u32_e32 v37, v37
	v_cmp_ge_f32_e64 s[58:59], 0, v38
	v_cvt_f32_u32_e32 v31, v31
	v_cndmask_b32_e64 v34, v36, v34, s[58:59]
	v_cmp_lt_f32_e64 s[58:59], 0, v39
	v_cndmask_b32_e64 v34, v34, v35, s[58:59]
	v_mul_f32_e32 v35, 0x37800000, v34
	v_cndmask_b32_e32 v34, v34, v35, vcc
	v_fma_f32 v35, v37, s65, 0
	v_cmp_class_f32_e32 vcc, v33, v28
	v_fma_f32 v31, v31, s65, 0
	v_cndmask_b32_e32 v33, v34, v33, vcc
	v_mul_f32_e32 v34, v35, v35
	v_add_f32_e32 v32, 1.0, v29
	v_cmp_nge_f32_e32 vcc, 1.0, v33
	v_fmac_f32_e32 v34, v31, v31
	v_cndmask_b32_e32 v29, v32, v29, vcc
	v_mul_f32_e32 v31, 0x4f800000, v34
	v_cmp_gt_f32_e32 vcc, s66, v34
	v_cndmask_b32_e32 v31, v34, v31, vcc
	v_sqrt_f32_e32 v33, v31
	s_add_i32 s62, s62, -2
	v_add_f32_e32 v32, 1.0, v29
	s_cmp_lg_u32 s62, 0
	v_add_u32_e32 v34, -1, v33
	v_add_u32_e32 v35, 1, v33
	v_fma_f32 v36, -v34, v33, v31
	v_fma_f32 v37, -v35, v33, v31
	v_cmp_ge_f32_e64 s[58:59], 0, v36
	v_cndmask_b32_e64 v33, v33, v34, s[58:59]
	v_cmp_lt_f32_e64 s[58:59], 0, v37
	v_cndmask_b32_e64 v33, v33, v35, s[58:59]
	v_mul_f32_e32 v34, 0x37800000, v33
	v_cndmask_b32_e32 v33, v33, v34, vcc
	v_cmp_class_f32_e32 vcc, v31, v28
	v_cndmask_b32_e32 v31, v33, v31, vcc
	v_cmp_nge_f32_e32 vcc, 1.0, v31
	v_cndmask_b32_e32 v29, v32, v29, vcc
	s_cbranch_scc1 .LBB29_432
; %bb.433:
	v_mul_f32_e32 v28, 4.0, v29
	s_mov_b32 s62, 0x461c4000
	v_div_scale_f32 v29, s[58:59], s62, s62, v28
	v_rcp_f32_e32 v30, v29
	v_fma_f32 v31, -v29, v30, 1.0
	v_fmac_f32_e32 v30, v31, v30
	v_div_scale_f32 v31, vcc, v28, s62, v28
	v_mul_f32_e32 v32, v31, v30
	v_fma_f32 v33, -v29, v32, v31
	v_fmac_f32_e32 v32, v33, v30
	v_fma_f32 v29, -v29, v32, v31
	v_div_fmas_f32 v29, v29, v30, v32
	v_div_fixup_f32 v28, v29, s62, v28
.LBB29_434:
	s_or_b64 exec, exec, s[60:61]
	v_add_u32_e32 v30, 0xe00, v0
	v_cmp_gt_u32_e64 s[58:59], s81, v30
                                        ; implicit-def: $vgpr29
	s_and_saveexec_b64 s[62:63], s[58:59]
	s_cbranch_execz .LBB29_438
; %bb.435:
	v_add_u32_e32 v29, s80, v30
	v_lshlrev_b32_e32 v30, 12, v29
	s_mov_b32 s60, 0x7ed55d16
	v_add3_u32 v29, v29, v30, s60
	v_lshrrev_b32_e32 v30, 19, v29
	v_xor_b32_e32 v29, v29, v30
	v_xor_b32_e32 v29, 0xc761c23c, v29
	v_lshl_add_u32 v29, v29, 5, v29
	v_mov_b32_e32 v31, 0xaccf6200
	v_add_u32_e32 v30, 0xe9f8cc1d, v29
	v_lshl_add_u32 v29, v29, 9, v31
	v_xor_b32_e32 v29, v30, v29
	v_lshlrev_b32_e32 v30, 3, v29
	s_mov_b32 s60, 0xfd7046c5
	v_add3_u32 v29, v29, v30, s60
	v_xor_b32_sdwa v29, v29, v29 dst_sel:DWORD dst_unused:UNUSED_PAD src0_sel:DWORD src1_sel:WORD_1
	v_xor_b32_e32 v29, 0xb55a4f09, v29
	v_mul_hi_u32 v30, v29, 3
	v_sub_u32_e32 v31, v29, v30
	v_lshrrev_b32_e32 v31, 1, v31
	v_add_u32_e32 v30, v31, v30
	v_lshrrev_b32_e32 v30, 30, v30
	s_brev_b32 s60, -2
	v_mul_lo_u32 v30, v30, s60
	v_sub_u32_e32 v29, v29, v30
	v_max_u32_e32 v31, 1, v29
	s_movk_i32 s64, 0x2710
	v_mov_b32_e32 v30, 0
	s_mov_b32 s65, 0xbc8f1391
	s_mov_b32 s66, 0xbc8f
	s_brev_b32 s67, 12
	s_mov_b32 s78, 0xf800000
	v_mov_b32_e32 v29, 0x260
.LBB29_436:                             ; =>This Inner Loop Header: Depth=1
	v_mul_hi_u32 v32, v31, s65
	v_lshrrev_b32_e32 v32, 15, v32
	v_mul_u32_u24_e32 v34, 0xadc8, v32
	v_sub_u32_e32 v31, v31, v34
	v_mul_u32_u24_e32 v32, 0xd47, v32
	v_mul_lo_u32 v31, v31, s66
	v_xor_b32_e32 v34, 0x7fffffff, v32
	v_sub_u32_e32 v35, 0, v32
	v_cmp_lt_u32_e32 vcc, v31, v32
	v_cndmask_b32_e32 v32, v35, v34, vcc
	v_add_u32_e32 v31, v32, v31
	v_mul_hi_u32 v34, v31, s65
	v_lshrrev_b32_e32 v34, 15, v34
	v_mul_u32_u24_e32 v35, 0xadc8, v34
	v_add_u32_e32 v32, -1, v31
	v_sub_u32_e32 v31, v31, v35
	v_mul_u32_u24_e32 v34, 0xd47, v34
	v_mul_lo_u32 v31, v31, s66
	v_xor_b32_e32 v35, 0x7fffffff, v34
	v_sub_u32_e32 v36, 0, v34
	v_cmp_lt_u32_e32 vcc, v31, v34
	v_cndmask_b32_e32 v34, v36, v35, vcc
	v_add_u32_e32 v31, v34, v31
	v_mul_hi_u32 v35, v31, s65
	v_add_u32_e32 v34, -1, v31
	v_lshrrev_b32_e32 v35, 15, v35
	v_cvt_f32_u32_e32 v34, v34
	v_mul_u32_u24_e32 v36, 0xadc8, v35
	v_cvt_f32_u32_e32 v32, v32
	v_sub_u32_e32 v31, v31, v36
	v_mul_u32_u24_e32 v35, 0xd47, v35
	v_mul_lo_u32 v31, v31, s66
	v_xor_b32_e32 v36, 0x7fffffff, v35
	v_sub_u32_e32 v37, 0, v35
	v_cmp_lt_u32_e32 vcc, v31, v35
	v_fma_f32 v34, v34, s67, 0
	v_cndmask_b32_e32 v35, v37, v36, vcc
	v_fma_f32 v32, v32, s67, 0
	v_mul_f32_e32 v34, v34, v34
	v_add_u32_e32 v31, v35, v31
	v_fmac_f32_e32 v34, v32, v32
	v_mul_hi_u32 v35, v31, s65
	v_mul_f32_e32 v36, 0x4f800000, v34
	v_lshrrev_b32_e32 v35, 15, v35
	v_cmp_gt_f32_e32 vcc, s78, v34
	v_cndmask_b32_e32 v34, v34, v36, vcc
	v_mul_u32_u24_e32 v36, 0xadc8, v35
	v_add_u32_e32 v32, -1, v31
	v_sqrt_f32_e32 v37, v34
	v_sub_u32_e32 v31, v31, v36
	v_mul_u32_u24_e32 v35, 0xd47, v35
	v_mul_lo_u32 v31, v31, s66
	v_xor_b32_e32 v36, 0x7fffffff, v35
	v_sub_u32_e32 v38, 0, v35
	v_cmp_lt_u32_e64 s[60:61], v31, v35
	v_cndmask_b32_e64 v35, v38, v36, s[60:61]
	v_add_u32_e32 v31, v35, v31
	v_add_u32_e32 v35, -1, v37
	v_add_u32_e32 v36, 1, v37
	v_add_u32_e32 v38, -1, v31
	v_fma_f32 v39, -v35, v37, v34
	v_fma_f32 v40, -v36, v37, v34
	v_cvt_f32_u32_e32 v38, v38
	v_cmp_ge_f32_e64 s[60:61], 0, v39
	v_cvt_f32_u32_e32 v32, v32
	v_cndmask_b32_e64 v35, v37, v35, s[60:61]
	v_cmp_lt_f32_e64 s[60:61], 0, v40
	v_cndmask_b32_e64 v35, v35, v36, s[60:61]
	v_mul_f32_e32 v36, 0x37800000, v35
	v_cndmask_b32_e32 v35, v35, v36, vcc
	v_fma_f32 v36, v38, s67, 0
	v_cmp_class_f32_e32 vcc, v34, v29
	v_fma_f32 v32, v32, s67, 0
	v_cndmask_b32_e32 v34, v35, v34, vcc
	v_mul_f32_e32 v35, v36, v36
	v_add_f32_e32 v33, 1.0, v30
	v_cmp_nge_f32_e32 vcc, 1.0, v34
	v_fmac_f32_e32 v35, v32, v32
	v_cndmask_b32_e32 v30, v33, v30, vcc
	v_mul_f32_e32 v32, 0x4f800000, v35
	v_cmp_gt_f32_e32 vcc, s78, v35
	v_cndmask_b32_e32 v32, v35, v32, vcc
	v_sqrt_f32_e32 v34, v32
	s_add_i32 s64, s64, -2
	v_add_f32_e32 v33, 1.0, v30
	s_cmp_lg_u32 s64, 0
	v_add_u32_e32 v35, -1, v34
	v_add_u32_e32 v36, 1, v34
	v_fma_f32 v37, -v35, v34, v32
	v_fma_f32 v38, -v36, v34, v32
	v_cmp_ge_f32_e64 s[60:61], 0, v37
	v_cndmask_b32_e64 v34, v34, v35, s[60:61]
	v_cmp_lt_f32_e64 s[60:61], 0, v38
	v_cndmask_b32_e64 v34, v34, v36, s[60:61]
	v_mul_f32_e32 v35, 0x37800000, v34
	v_cndmask_b32_e32 v34, v34, v35, vcc
	v_cmp_class_f32_e32 vcc, v32, v29
	v_cndmask_b32_e32 v32, v34, v32, vcc
	v_cmp_nge_f32_e32 vcc, 1.0, v32
	v_cndmask_b32_e32 v30, v33, v30, vcc
	s_cbranch_scc1 .LBB29_436
; %bb.437:
	v_mul_f32_e32 v29, 4.0, v30
	s_mov_b32 s64, 0x461c4000
	v_div_scale_f32 v30, s[60:61], s64, s64, v29
	v_rcp_f32_e32 v31, v30
	v_fma_f32 v32, -v30, v31, 1.0
	v_fmac_f32_e32 v31, v32, v31
	v_div_scale_f32 v32, vcc, v29, s64, v29
	v_mul_f32_e32 v33, v32, v31
	v_fma_f32 v34, -v30, v33, v32
	v_fmac_f32_e32 v33, v34, v31
	v_fma_f32 v30, -v30, v33, v32
	v_div_fmas_f32 v30, v30, v31, v33
	v_div_fixup_f32 v29, v30, s64, v29
.LBB29_438:
	s_or_b64 exec, exec, s[62:63]
	v_add_u32_e32 v31, 0xe80, v0
	v_cmp_gt_u32_e64 s[60:61], s81, v31
                                        ; implicit-def: $vgpr30
	s_and_saveexec_b64 s[64:65], s[60:61]
	s_cbranch_execz .LBB29_442
; %bb.439:
	v_add_u32_e32 v30, s80, v31
	v_lshlrev_b32_e32 v31, 12, v30
	s_mov_b32 s62, 0x7ed55d16
	v_add3_u32 v30, v30, v31, s62
	v_lshrrev_b32_e32 v31, 19, v30
	v_xor_b32_e32 v30, v30, v31
	v_xor_b32_e32 v30, 0xc761c23c, v30
	v_lshl_add_u32 v30, v30, 5, v30
	v_mov_b32_e32 v32, 0xaccf6200
	v_add_u32_e32 v31, 0xe9f8cc1d, v30
	v_lshl_add_u32 v30, v30, 9, v32
	v_xor_b32_e32 v30, v31, v30
	v_lshlrev_b32_e32 v31, 3, v30
	s_mov_b32 s62, 0xfd7046c5
	v_add3_u32 v30, v30, v31, s62
	v_xor_b32_sdwa v30, v30, v30 dst_sel:DWORD dst_unused:UNUSED_PAD src0_sel:DWORD src1_sel:WORD_1
	v_xor_b32_e32 v30, 0xb55a4f09, v30
	v_mul_hi_u32 v31, v30, 3
	v_sub_u32_e32 v32, v30, v31
	v_lshrrev_b32_e32 v32, 1, v32
	v_add_u32_e32 v31, v32, v31
	v_lshrrev_b32_e32 v31, 30, v31
	s_brev_b32 s62, -2
	v_mul_lo_u32 v31, v31, s62
	v_sub_u32_e32 v30, v30, v31
	v_max_u32_e32 v32, 1, v30
	s_movk_i32 s66, 0x2710
	v_mov_b32_e32 v31, 0
	s_mov_b32 s67, 0xbc8f1391
	s_mov_b32 s78, 0xbc8f
	s_brev_b32 s79, 12
	s_mov_b32 s82, 0xf800000
	v_mov_b32_e32 v30, 0x260
.LBB29_440:                             ; =>This Inner Loop Header: Depth=1
	v_mul_hi_u32 v33, v32, s67
	v_lshrrev_b32_e32 v33, 15, v33
	v_mul_u32_u24_e32 v35, 0xadc8, v33
	v_sub_u32_e32 v32, v32, v35
	v_mul_u32_u24_e32 v33, 0xd47, v33
	v_mul_lo_u32 v32, v32, s78
	v_xor_b32_e32 v35, 0x7fffffff, v33
	v_sub_u32_e32 v36, 0, v33
	v_cmp_lt_u32_e32 vcc, v32, v33
	v_cndmask_b32_e32 v33, v36, v35, vcc
	v_add_u32_e32 v32, v33, v32
	v_mul_hi_u32 v35, v32, s67
	v_lshrrev_b32_e32 v35, 15, v35
	v_mul_u32_u24_e32 v36, 0xadc8, v35
	v_add_u32_e32 v33, -1, v32
	v_sub_u32_e32 v32, v32, v36
	v_mul_u32_u24_e32 v35, 0xd47, v35
	v_mul_lo_u32 v32, v32, s78
	v_xor_b32_e32 v36, 0x7fffffff, v35
	v_sub_u32_e32 v37, 0, v35
	v_cmp_lt_u32_e32 vcc, v32, v35
	v_cndmask_b32_e32 v35, v37, v36, vcc
	v_add_u32_e32 v32, v35, v32
	v_mul_hi_u32 v36, v32, s67
	v_add_u32_e32 v35, -1, v32
	v_lshrrev_b32_e32 v36, 15, v36
	v_cvt_f32_u32_e32 v35, v35
	v_mul_u32_u24_e32 v37, 0xadc8, v36
	v_cvt_f32_u32_e32 v33, v33
	v_sub_u32_e32 v32, v32, v37
	v_mul_u32_u24_e32 v36, 0xd47, v36
	v_mul_lo_u32 v32, v32, s78
	v_xor_b32_e32 v37, 0x7fffffff, v36
	v_sub_u32_e32 v38, 0, v36
	v_cmp_lt_u32_e32 vcc, v32, v36
	v_fma_f32 v35, v35, s79, 0
	v_cndmask_b32_e32 v36, v38, v37, vcc
	v_fma_f32 v33, v33, s79, 0
	v_mul_f32_e32 v35, v35, v35
	v_add_u32_e32 v32, v36, v32
	v_fmac_f32_e32 v35, v33, v33
	v_mul_hi_u32 v36, v32, s67
	v_mul_f32_e32 v37, 0x4f800000, v35
	v_lshrrev_b32_e32 v36, 15, v36
	v_cmp_gt_f32_e32 vcc, s82, v35
	v_cndmask_b32_e32 v35, v35, v37, vcc
	v_mul_u32_u24_e32 v37, 0xadc8, v36
	v_add_u32_e32 v33, -1, v32
	v_sqrt_f32_e32 v38, v35
	v_sub_u32_e32 v32, v32, v37
	v_mul_u32_u24_e32 v36, 0xd47, v36
	v_mul_lo_u32 v32, v32, s78
	v_xor_b32_e32 v37, 0x7fffffff, v36
	v_sub_u32_e32 v39, 0, v36
	v_cmp_lt_u32_e64 s[62:63], v32, v36
	v_cndmask_b32_e64 v36, v39, v37, s[62:63]
	v_add_u32_e32 v32, v36, v32
	v_add_u32_e32 v36, -1, v38
	v_add_u32_e32 v37, 1, v38
	v_add_u32_e32 v39, -1, v32
	v_fma_f32 v40, -v36, v38, v35
	v_fma_f32 v41, -v37, v38, v35
	v_cvt_f32_u32_e32 v39, v39
	v_cmp_ge_f32_e64 s[62:63], 0, v40
	v_cvt_f32_u32_e32 v33, v33
	v_cndmask_b32_e64 v36, v38, v36, s[62:63]
	v_cmp_lt_f32_e64 s[62:63], 0, v41
	v_cndmask_b32_e64 v36, v36, v37, s[62:63]
	v_mul_f32_e32 v37, 0x37800000, v36
	v_cndmask_b32_e32 v36, v36, v37, vcc
	v_fma_f32 v37, v39, s79, 0
	v_cmp_class_f32_e32 vcc, v35, v30
	v_fma_f32 v33, v33, s79, 0
	v_cndmask_b32_e32 v35, v36, v35, vcc
	v_mul_f32_e32 v36, v37, v37
	v_add_f32_e32 v34, 1.0, v31
	v_cmp_nge_f32_e32 vcc, 1.0, v35
	v_fmac_f32_e32 v36, v33, v33
	v_cndmask_b32_e32 v31, v34, v31, vcc
	v_mul_f32_e32 v33, 0x4f800000, v36
	v_cmp_gt_f32_e32 vcc, s82, v36
	v_cndmask_b32_e32 v33, v36, v33, vcc
	v_sqrt_f32_e32 v35, v33
	s_add_i32 s66, s66, -2
	v_add_f32_e32 v34, 1.0, v31
	s_cmp_lg_u32 s66, 0
	v_add_u32_e32 v36, -1, v35
	v_add_u32_e32 v37, 1, v35
	v_fma_f32 v38, -v36, v35, v33
	v_fma_f32 v39, -v37, v35, v33
	v_cmp_ge_f32_e64 s[62:63], 0, v38
	v_cndmask_b32_e64 v35, v35, v36, s[62:63]
	v_cmp_lt_f32_e64 s[62:63], 0, v39
	v_cndmask_b32_e64 v35, v35, v37, s[62:63]
	v_mul_f32_e32 v36, 0x37800000, v35
	v_cndmask_b32_e32 v35, v35, v36, vcc
	v_cmp_class_f32_e32 vcc, v33, v30
	v_cndmask_b32_e32 v33, v35, v33, vcc
	v_cmp_nge_f32_e32 vcc, 1.0, v33
	v_cndmask_b32_e32 v31, v34, v31, vcc
	s_cbranch_scc1 .LBB29_440
; %bb.441:
	v_mul_f32_e32 v30, 4.0, v31
	s_mov_b32 s66, 0x461c4000
	v_div_scale_f32 v31, s[62:63], s66, s66, v30
	v_rcp_f32_e32 v32, v31
	v_fma_f32 v33, -v31, v32, 1.0
	v_fmac_f32_e32 v32, v33, v32
	v_div_scale_f32 v33, vcc, v30, s66, v30
	v_mul_f32_e32 v34, v33, v32
	v_fma_f32 v35, -v31, v34, v33
	v_fmac_f32_e32 v34, v35, v32
	v_fma_f32 v31, -v31, v34, v33
	v_div_fmas_f32 v31, v31, v32, v34
	v_div_fixup_f32 v30, v31, s66, v30
.LBB29_442:
	s_or_b64 exec, exec, s[64:65]
	v_add_u32_e32 v32, 0xf00, v0
	v_cmp_gt_u32_e64 s[62:63], s81, v32
                                        ; implicit-def: $vgpr31
	s_and_saveexec_b64 s[66:67], s[62:63]
	s_cbranch_execz .LBB29_446
; %bb.443:
	v_add_u32_e32 v31, s80, v32
	v_lshlrev_b32_e32 v32, 12, v31
	s_mov_b32 s64, 0x7ed55d16
	v_add3_u32 v31, v31, v32, s64
	v_lshrrev_b32_e32 v32, 19, v31
	v_xor_b32_e32 v31, v31, v32
	v_xor_b32_e32 v31, 0xc761c23c, v31
	v_lshl_add_u32 v31, v31, 5, v31
	v_mov_b32_e32 v33, 0xaccf6200
	v_add_u32_e32 v32, 0xe9f8cc1d, v31
	v_lshl_add_u32 v31, v31, 9, v33
	v_xor_b32_e32 v31, v32, v31
	v_lshlrev_b32_e32 v32, 3, v31
	s_mov_b32 s64, 0xfd7046c5
	v_add3_u32 v31, v31, v32, s64
	v_xor_b32_sdwa v31, v31, v31 dst_sel:DWORD dst_unused:UNUSED_PAD src0_sel:DWORD src1_sel:WORD_1
	v_xor_b32_e32 v31, 0xb55a4f09, v31
	v_mul_hi_u32 v32, v31, 3
	v_sub_u32_e32 v33, v31, v32
	v_lshrrev_b32_e32 v33, 1, v33
	v_add_u32_e32 v32, v33, v32
	v_lshrrev_b32_e32 v32, 30, v32
	s_brev_b32 s64, -2
	v_mul_lo_u32 v32, v32, s64
	v_sub_u32_e32 v31, v31, v32
	v_max_u32_e32 v33, 1, v31
	s_movk_i32 s78, 0x2710
	v_mov_b32_e32 v32, 0
	s_mov_b32 s79, 0xbc8f1391
	s_mov_b32 s82, 0xbc8f
	s_brev_b32 s83, 12
	s_mov_b32 s84, 0xf800000
	v_mov_b32_e32 v31, 0x260
.LBB29_444:                             ; =>This Inner Loop Header: Depth=1
	v_mul_hi_u32 v34, v33, s79
	v_lshrrev_b32_e32 v34, 15, v34
	v_mul_u32_u24_e32 v36, 0xadc8, v34
	v_sub_u32_e32 v33, v33, v36
	v_mul_u32_u24_e32 v34, 0xd47, v34
	v_mul_lo_u32 v33, v33, s82
	v_xor_b32_e32 v36, 0x7fffffff, v34
	v_sub_u32_e32 v37, 0, v34
	v_cmp_lt_u32_e32 vcc, v33, v34
	v_cndmask_b32_e32 v34, v37, v36, vcc
	v_add_u32_e32 v33, v34, v33
	v_mul_hi_u32 v36, v33, s79
	v_lshrrev_b32_e32 v36, 15, v36
	v_mul_u32_u24_e32 v37, 0xadc8, v36
	v_add_u32_e32 v34, -1, v33
	v_sub_u32_e32 v33, v33, v37
	v_mul_u32_u24_e32 v36, 0xd47, v36
	v_mul_lo_u32 v33, v33, s82
	v_xor_b32_e32 v37, 0x7fffffff, v36
	v_sub_u32_e32 v38, 0, v36
	v_cmp_lt_u32_e32 vcc, v33, v36
	v_cndmask_b32_e32 v36, v38, v37, vcc
	v_add_u32_e32 v33, v36, v33
	v_mul_hi_u32 v37, v33, s79
	v_add_u32_e32 v36, -1, v33
	v_lshrrev_b32_e32 v37, 15, v37
	v_cvt_f32_u32_e32 v36, v36
	v_mul_u32_u24_e32 v38, 0xadc8, v37
	v_cvt_f32_u32_e32 v34, v34
	v_sub_u32_e32 v33, v33, v38
	v_mul_u32_u24_e32 v37, 0xd47, v37
	v_mul_lo_u32 v33, v33, s82
	v_xor_b32_e32 v38, 0x7fffffff, v37
	v_sub_u32_e32 v39, 0, v37
	v_cmp_lt_u32_e32 vcc, v33, v37
	v_fma_f32 v36, v36, s83, 0
	v_cndmask_b32_e32 v37, v39, v38, vcc
	v_fma_f32 v34, v34, s83, 0
	v_mul_f32_e32 v36, v36, v36
	v_add_u32_e32 v33, v37, v33
	v_fmac_f32_e32 v36, v34, v34
	v_mul_hi_u32 v37, v33, s79
	v_mul_f32_e32 v38, 0x4f800000, v36
	v_lshrrev_b32_e32 v37, 15, v37
	v_cmp_gt_f32_e32 vcc, s84, v36
	v_cndmask_b32_e32 v36, v36, v38, vcc
	v_mul_u32_u24_e32 v38, 0xadc8, v37
	v_add_u32_e32 v34, -1, v33
	v_sqrt_f32_e32 v39, v36
	v_sub_u32_e32 v33, v33, v38
	v_mul_u32_u24_e32 v37, 0xd47, v37
	v_mul_lo_u32 v33, v33, s82
	v_xor_b32_e32 v38, 0x7fffffff, v37
	v_sub_u32_e32 v40, 0, v37
	v_cmp_lt_u32_e64 s[64:65], v33, v37
	v_cndmask_b32_e64 v37, v40, v38, s[64:65]
	v_add_u32_e32 v33, v37, v33
	v_add_u32_e32 v37, -1, v39
	v_add_u32_e32 v38, 1, v39
	v_add_u32_e32 v40, -1, v33
	v_fma_f32 v41, -v37, v39, v36
	v_fma_f32 v42, -v38, v39, v36
	v_cvt_f32_u32_e32 v40, v40
	v_cmp_ge_f32_e64 s[64:65], 0, v41
	v_cvt_f32_u32_e32 v34, v34
	v_cndmask_b32_e64 v37, v39, v37, s[64:65]
	v_cmp_lt_f32_e64 s[64:65], 0, v42
	v_cndmask_b32_e64 v37, v37, v38, s[64:65]
	v_mul_f32_e32 v38, 0x37800000, v37
	v_cndmask_b32_e32 v37, v37, v38, vcc
	v_fma_f32 v38, v40, s83, 0
	v_cmp_class_f32_e32 vcc, v36, v31
	v_fma_f32 v34, v34, s83, 0
	v_cndmask_b32_e32 v36, v37, v36, vcc
	v_mul_f32_e32 v37, v38, v38
	v_add_f32_e32 v35, 1.0, v32
	v_cmp_nge_f32_e32 vcc, 1.0, v36
	v_fmac_f32_e32 v37, v34, v34
	v_cndmask_b32_e32 v32, v35, v32, vcc
	v_mul_f32_e32 v34, 0x4f800000, v37
	v_cmp_gt_f32_e32 vcc, s84, v37
	v_cndmask_b32_e32 v34, v37, v34, vcc
	v_sqrt_f32_e32 v36, v34
	s_add_i32 s78, s78, -2
	v_add_f32_e32 v35, 1.0, v32
	s_cmp_lg_u32 s78, 0
	v_add_u32_e32 v37, -1, v36
	v_add_u32_e32 v38, 1, v36
	v_fma_f32 v39, -v37, v36, v34
	v_fma_f32 v40, -v38, v36, v34
	v_cmp_ge_f32_e64 s[64:65], 0, v39
	v_cndmask_b32_e64 v36, v36, v37, s[64:65]
	v_cmp_lt_f32_e64 s[64:65], 0, v40
	v_cndmask_b32_e64 v36, v36, v38, s[64:65]
	v_mul_f32_e32 v37, 0x37800000, v36
	v_cndmask_b32_e32 v36, v36, v37, vcc
	v_cmp_class_f32_e32 vcc, v34, v31
	v_cndmask_b32_e32 v34, v36, v34, vcc
	v_cmp_nge_f32_e32 vcc, 1.0, v34
	v_cndmask_b32_e32 v32, v35, v32, vcc
	s_cbranch_scc1 .LBB29_444
; %bb.445:
	v_mul_f32_e32 v31, 4.0, v32
	s_mov_b32 s78, 0x461c4000
	v_div_scale_f32 v32, s[64:65], s78, s78, v31
	v_rcp_f32_e32 v33, v32
	v_fma_f32 v34, -v32, v33, 1.0
	v_fmac_f32_e32 v33, v34, v33
	v_div_scale_f32 v34, vcc, v31, s78, v31
	v_mul_f32_e32 v35, v34, v33
	v_fma_f32 v36, -v32, v35, v34
	v_fmac_f32_e32 v35, v36, v33
	v_fma_f32 v32, -v32, v35, v34
	v_div_fmas_f32 v32, v32, v33, v35
	v_div_fixup_f32 v31, v32, s78, v31
.LBB29_446:
	s_or_b64 exec, exec, s[66:67]
	v_add_u32_e32 v33, 0xf80, v0
	v_cmp_gt_u32_e64 s[64:65], s81, v33
                                        ; implicit-def: $vgpr32
	s_and_saveexec_b64 s[78:79], s[64:65]
	s_cbranch_execz .LBB29_450
; %bb.447:
	v_add_u32_e32 v32, s80, v33
	v_lshlrev_b32_e32 v33, 12, v32
	s_mov_b32 s66, 0x7ed55d16
	v_add3_u32 v32, v32, v33, s66
	v_lshrrev_b32_e32 v33, 19, v32
	v_xor_b32_e32 v32, v32, v33
	v_xor_b32_e32 v32, 0xc761c23c, v32
	v_lshl_add_u32 v32, v32, 5, v32
	v_mov_b32_e32 v34, 0xaccf6200
	v_add_u32_e32 v33, 0xe9f8cc1d, v32
	v_lshl_add_u32 v32, v32, 9, v34
	v_xor_b32_e32 v32, v33, v32
	v_lshlrev_b32_e32 v33, 3, v32
	s_mov_b32 s66, 0xfd7046c5
	v_add3_u32 v32, v32, v33, s66
	v_xor_b32_sdwa v32, v32, v32 dst_sel:DWORD dst_unused:UNUSED_PAD src0_sel:DWORD src1_sel:WORD_1
	v_xor_b32_e32 v32, 0xb55a4f09, v32
	v_mul_hi_u32 v33, v32, 3
	v_sub_u32_e32 v34, v32, v33
	v_lshrrev_b32_e32 v34, 1, v34
	v_add_u32_e32 v33, v34, v33
	v_lshrrev_b32_e32 v33, 30, v33
	s_brev_b32 s66, -2
	v_mul_lo_u32 v33, v33, s66
	v_sub_u32_e32 v32, v32, v33
	v_max_u32_e32 v34, 1, v32
	s_movk_i32 s80, 0x2710
	v_mov_b32_e32 v33, 0
	s_mov_b32 s82, 0xbc8f1391
	s_mov_b32 s83, 0xbc8f
	s_brev_b32 s84, 12
	s_mov_b32 s85, 0xf800000
	v_mov_b32_e32 v32, 0x260
.LBB29_448:                             ; =>This Inner Loop Header: Depth=1
	v_mul_hi_u32 v35, v34, s82
	v_lshrrev_b32_e32 v35, 15, v35
	v_mul_u32_u24_e32 v37, 0xadc8, v35
	v_sub_u32_e32 v34, v34, v37
	v_mul_u32_u24_e32 v35, 0xd47, v35
	v_mul_lo_u32 v34, v34, s83
	v_xor_b32_e32 v37, 0x7fffffff, v35
	v_sub_u32_e32 v38, 0, v35
	v_cmp_lt_u32_e32 vcc, v34, v35
	v_cndmask_b32_e32 v35, v38, v37, vcc
	v_add_u32_e32 v34, v35, v34
	v_mul_hi_u32 v37, v34, s82
	v_lshrrev_b32_e32 v37, 15, v37
	v_mul_u32_u24_e32 v38, 0xadc8, v37
	v_add_u32_e32 v35, -1, v34
	v_sub_u32_e32 v34, v34, v38
	v_mul_u32_u24_e32 v37, 0xd47, v37
	v_mul_lo_u32 v34, v34, s83
	v_xor_b32_e32 v38, 0x7fffffff, v37
	v_sub_u32_e32 v39, 0, v37
	v_cmp_lt_u32_e32 vcc, v34, v37
	v_cndmask_b32_e32 v37, v39, v38, vcc
	v_add_u32_e32 v34, v37, v34
	v_mul_hi_u32 v38, v34, s82
	v_add_u32_e32 v37, -1, v34
	v_lshrrev_b32_e32 v38, 15, v38
	v_cvt_f32_u32_e32 v37, v37
	v_mul_u32_u24_e32 v39, 0xadc8, v38
	v_cvt_f32_u32_e32 v35, v35
	v_sub_u32_e32 v34, v34, v39
	v_mul_u32_u24_e32 v38, 0xd47, v38
	v_mul_lo_u32 v34, v34, s83
	v_xor_b32_e32 v39, 0x7fffffff, v38
	v_sub_u32_e32 v40, 0, v38
	v_cmp_lt_u32_e32 vcc, v34, v38
	v_fma_f32 v37, v37, s84, 0
	v_cndmask_b32_e32 v38, v40, v39, vcc
	v_fma_f32 v35, v35, s84, 0
	v_mul_f32_e32 v37, v37, v37
	v_add_u32_e32 v34, v38, v34
	v_fmac_f32_e32 v37, v35, v35
	v_mul_hi_u32 v38, v34, s82
	v_mul_f32_e32 v39, 0x4f800000, v37
	v_lshrrev_b32_e32 v38, 15, v38
	v_cmp_gt_f32_e32 vcc, s85, v37
	v_cndmask_b32_e32 v37, v37, v39, vcc
	v_mul_u32_u24_e32 v39, 0xadc8, v38
	v_add_u32_e32 v35, -1, v34
	v_sqrt_f32_e32 v40, v37
	v_sub_u32_e32 v34, v34, v39
	v_mul_u32_u24_e32 v38, 0xd47, v38
	v_mul_lo_u32 v34, v34, s83
	v_xor_b32_e32 v39, 0x7fffffff, v38
	v_sub_u32_e32 v41, 0, v38
	v_cmp_lt_u32_e64 s[66:67], v34, v38
	v_cndmask_b32_e64 v38, v41, v39, s[66:67]
	v_add_u32_e32 v34, v38, v34
	v_add_u32_e32 v38, -1, v40
	v_add_u32_e32 v39, 1, v40
	v_add_u32_e32 v41, -1, v34
	v_fma_f32 v42, -v38, v40, v37
	v_fma_f32 v43, -v39, v40, v37
	v_cvt_f32_u32_e32 v41, v41
	v_cmp_ge_f32_e64 s[66:67], 0, v42
	v_cvt_f32_u32_e32 v35, v35
	v_cndmask_b32_e64 v38, v40, v38, s[66:67]
	v_cmp_lt_f32_e64 s[66:67], 0, v43
	v_cndmask_b32_e64 v38, v38, v39, s[66:67]
	v_mul_f32_e32 v39, 0x37800000, v38
	v_cndmask_b32_e32 v38, v38, v39, vcc
	v_fma_f32 v39, v41, s84, 0
	v_cmp_class_f32_e32 vcc, v37, v32
	v_fma_f32 v35, v35, s84, 0
	v_cndmask_b32_e32 v37, v38, v37, vcc
	v_mul_f32_e32 v38, v39, v39
	v_add_f32_e32 v36, 1.0, v33
	v_cmp_nge_f32_e32 vcc, 1.0, v37
	v_fmac_f32_e32 v38, v35, v35
	v_cndmask_b32_e32 v33, v36, v33, vcc
	v_mul_f32_e32 v35, 0x4f800000, v38
	v_cmp_gt_f32_e32 vcc, s85, v38
	v_cndmask_b32_e32 v35, v38, v35, vcc
	v_sqrt_f32_e32 v37, v35
	s_add_i32 s80, s80, -2
	v_add_f32_e32 v36, 1.0, v33
	s_cmp_lg_u32 s80, 0
	v_add_u32_e32 v38, -1, v37
	v_add_u32_e32 v39, 1, v37
	v_fma_f32 v40, -v38, v37, v35
	v_fma_f32 v41, -v39, v37, v35
	v_cmp_ge_f32_e64 s[66:67], 0, v40
	v_cndmask_b32_e64 v37, v37, v38, s[66:67]
	v_cmp_lt_f32_e64 s[66:67], 0, v41
	v_cndmask_b32_e64 v37, v37, v39, s[66:67]
	v_mul_f32_e32 v38, 0x37800000, v37
	v_cndmask_b32_e32 v37, v37, v38, vcc
	v_cmp_class_f32_e32 vcc, v35, v32
	v_cndmask_b32_e32 v35, v37, v35, vcc
	v_cmp_nge_f32_e32 vcc, 1.0, v35
	v_cndmask_b32_e32 v33, v36, v33, vcc
	s_cbranch_scc1 .LBB29_448
; %bb.449:
	v_mul_f32_e32 v32, 4.0, v33
	s_mov_b32 s80, 0x461c4000
	v_div_scale_f32 v33, s[66:67], s80, s80, v32
	v_rcp_f32_e32 v34, v33
	v_fma_f32 v35, -v33, v34, 1.0
	v_fmac_f32_e32 v34, v35, v34
	v_div_scale_f32 v35, vcc, v32, s80, v32
	v_mul_f32_e32 v36, v35, v34
	v_fma_f32 v37, -v33, v36, v35
	v_fmac_f32_e32 v36, v37, v34
	v_fma_f32 v33, -v33, v36, v35
	v_div_fmas_f32 v33, v33, v34, v36
	v_div_fixup_f32 v32, v33, s80, v32
.LBB29_450:
	s_or_b64 exec, exec, s[78:79]
	v_add_f32_e32 v2, v1, v2
	v_cndmask_b32_e64 v1, v1, v2, s[0:1]
	v_add_f32_e32 v2, v1, v3
	v_cndmask_b32_e64 v1, v1, v2, s[2:3]
	v_add_f32_e32 v2, v1, v4
	v_cndmask_b32_e64 v1, v1, v2, s[4:5]
	v_add_f32_e32 v2, v1, v5
	v_cndmask_b32_e64 v1, v1, v2, s[8:9]
	v_add_f32_e32 v2, v1, v6
	v_cndmask_b32_e64 v1, v1, v2, s[10:11]
	v_add_f32_e32 v2, v1, v7
	v_cndmask_b32_e64 v1, v1, v2, s[12:13]
	v_add_f32_e32 v2, v1, v8
	v_cndmask_b32_e64 v1, v1, v2, s[14:15]
	v_add_f32_e32 v2, v1, v9
	v_cndmask_b32_e64 v1, v1, v2, s[16:17]
	v_add_f32_e32 v2, v1, v10
	v_cndmask_b32_e64 v1, v1, v2, s[18:19]
	v_add_f32_e32 v2, v1, v11
	v_cndmask_b32_e64 v1, v1, v2, s[20:21]
	v_add_f32_e32 v2, v1, v12
	v_cndmask_b32_e64 v1, v1, v2, s[22:23]
	v_add_f32_e32 v2, v1, v13
	v_cndmask_b32_e64 v1, v1, v2, s[24:25]
	v_add_f32_e32 v2, v1, v14
	v_cndmask_b32_e64 v1, v1, v2, s[26:27]
	v_add_f32_e32 v2, v1, v15
	v_cndmask_b32_e64 v1, v1, v2, s[28:29]
	v_add_f32_e32 v2, v1, v16
	v_cndmask_b32_e64 v1, v1, v2, s[30:31]
	v_add_f32_e32 v2, v1, v17
	v_cndmask_b32_e64 v1, v1, v2, s[34:35]
	v_add_f32_e32 v2, v1, v18
	v_cndmask_b32_e64 v1, v1, v2, s[36:37]
	v_add_f32_e32 v2, v1, v19
	v_cndmask_b32_e64 v1, v1, v2, s[38:39]
	v_add_f32_e32 v2, v1, v20
	v_cndmask_b32_e64 v1, v1, v2, s[40:41]
	v_add_f32_e32 v2, v1, v21
	v_cndmask_b32_e64 v1, v1, v2, s[42:43]
	v_add_f32_e32 v2, v1, v22
	v_cndmask_b32_e64 v1, v1, v2, s[44:45]
	v_add_f32_e32 v2, v1, v23
	v_cndmask_b32_e64 v1, v1, v2, s[46:47]
	v_add_f32_e32 v2, v1, v24
	v_cndmask_b32_e64 v1, v1, v2, s[48:49]
	v_add_f32_e32 v2, v1, v25
	v_cndmask_b32_e64 v1, v1, v2, s[50:51]
	v_add_f32_e32 v2, v1, v26
	v_cndmask_b32_e64 v1, v1, v2, s[52:53]
	v_add_f32_e32 v2, v1, v27
	v_cndmask_b32_e64 v1, v1, v2, s[54:55]
	v_add_f32_e32 v2, v1, v28
	v_cndmask_b32_e64 v1, v1, v2, s[56:57]
	v_add_f32_e32 v2, v1, v29
	v_cndmask_b32_e64 v1, v1, v2, s[58:59]
	v_add_f32_e32 v2, v1, v30
	v_cndmask_b32_e64 v1, v1, v2, s[60:61]
	v_add_f32_e32 v2, v1, v31
	v_cndmask_b32_e64 v1, v1, v2, s[62:63]
	v_add_f32_e32 v2, v1, v32
	v_cndmask_b32_e64 v2, v1, v2, s[64:65]
	v_mbcnt_lo_u32_b32 v1, -1, 0
	v_mbcnt_hi_u32_b32 v1, -1, v1
	v_and_b32_e32 v3, 63, v1
	v_cmp_ne_u32_e32 vcc, 63, v3
	v_addc_co_u32_e32 v4, vcc, 0, v1, vcc
	v_lshlrev_b32_e32 v4, 2, v4
	ds_bpermute_b32 v4, v4, v2
	s_min_u32 s2, s81, 0x80
	v_and_b32_e32 v5, 0x3c0, v0
	v_sub_u32_e64 v5, s2, v5 clamp
	v_add_u32_e32 v6, 1, v3
	v_cmp_gt_u32_e64 s[0:1], 62, v3
	v_cmp_lt_u32_e32 vcc, v6, v5
	v_cndmask_b32_e64 v6, 0, 1, s[0:1]
	s_waitcnt lgkmcnt(0)
	v_add_f32_e32 v4, v2, v4
	v_lshlrev_b32_e32 v6, 1, v6
	v_cndmask_b32_e32 v4, v2, v4, vcc
	v_add_lshl_u32 v6, v6, v1, 2
	ds_bpermute_b32 v6, v6, v4
	v_add_u32_e32 v7, 2, v3
	v_cmp_lt_u32_e64 s[0:1], v7, v5
	v_add_u32_e32 v7, 4, v3
	s_waitcnt lgkmcnt(0)
	v_add_f32_e32 v6, v4, v6
	v_cndmask_b32_e64 v4, v4, v6, s[0:1]
	v_cmp_gt_u32_e64 s[0:1], 60, v3
	v_cndmask_b32_e64 v6, 0, 1, s[0:1]
	v_lshlrev_b32_e32 v6, 2, v6
	v_add_lshl_u32 v6, v6, v1, 2
	ds_bpermute_b32 v6, v6, v4
	v_cmp_lt_u32_e64 s[0:1], v7, v5
	v_add_u32_e32 v7, 8, v3
	s_waitcnt lgkmcnt(0)
	v_add_f32_e32 v6, v4, v6
	v_cndmask_b32_e64 v4, v4, v6, s[0:1]
	v_cmp_gt_u32_e64 s[0:1], 56, v3
	v_cndmask_b32_e64 v6, 0, 1, s[0:1]
	v_lshlrev_b32_e32 v6, 3, v6
	v_add_lshl_u32 v6, v6, v1, 2
	ds_bpermute_b32 v6, v6, v4
	;; [unrolled: 10-line block ×3, first 2 shown]
	v_cmp_lt_u32_e64 s[0:1], v7, v5
	s_waitcnt lgkmcnt(0)
	v_add_f32_e32 v6, v4, v6
	v_cndmask_b32_e64 v4, v4, v6, s[0:1]
	v_cmp_gt_u32_e64 s[0:1], 32, v3
	v_cndmask_b32_e64 v6, 0, 1, s[0:1]
	v_lshlrev_b32_e32 v6, 5, v6
	v_add_lshl_u32 v6, v6, v1, 2
	ds_bpermute_b32 v6, v6, v4
	v_add_u32_e32 v3, 32, v3
	v_cmp_lt_u32_e64 s[0:1], v3, v5
	s_waitcnt lgkmcnt(0)
	v_add_f32_e32 v6, v4, v6
	v_cndmask_b32_e64 v3, v4, v6, s[0:1]
	v_cndmask_b32_e32 v2, v2, v3, vcc
	v_cmp_eq_u32_e32 vcc, 0, v1
	s_and_saveexec_b64 s[0:1], vcc
	s_cbranch_execz .LBB29_452
; %bb.451:
	v_lshrrev_b32_e32 v3, 4, v0
	v_and_b32_e32 v3, 0xffffffc, v3
	ds_write_b32 v3, v2 offset:48
.LBB29_452:
	s_or_b64 exec, exec, s[0:1]
	v_cmp_gt_u32_e32 vcc, 2, v0
	s_waitcnt lgkmcnt(0)
	s_barrier
	s_and_saveexec_b64 s[0:1], vcc
	s_cbranch_execz .LBB29_454
; %bb.453:
	v_lshlrev_b32_e32 v2, 2, v1
	ds_read_b32 v3, v2 offset:48
	v_or_b32_e32 v2, 4, v2
	s_add_i32 s2, s2, 63
	v_and_b32_e32 v1, 1, v1
	s_lshr_b32 s2, s2, 6
	s_waitcnt lgkmcnt(0)
	ds_bpermute_b32 v2, v2, v3
	v_add_u32_e32 v1, 1, v1
	v_cmp_gt_u32_e32 vcc, s2, v1
	s_waitcnt lgkmcnt(0)
	v_add_f32_e32 v2, v3, v2
	v_cndmask_b32_e32 v2, v3, v2, vcc
.LBB29_454:
	s_or_b64 exec, exec, s[0:1]
.LBB29_455:
	v_cmp_eq_u32_e32 vcc, 0, v0
	s_and_saveexec_b64 s[0:1], vcc
	s_cbranch_execz .LBB29_457
; %bb.456:
	s_lshl_b64 s[2:3], s[6:7], 2
	s_add_u32 s2, s70, s2
	s_addc_u32 s3, s71, s3
	s_cmp_eq_u64 s[68:69], 0
	v_add_f32_e32 v2, s33, v2
	v_mov_b32_e32 v3, s33
	s_cselect_b64 vcc, -1, 0
	v_mov_b32_e32 v1, 0
	v_cndmask_b32_e32 v2, v2, v3, vcc
	global_store_dword v1, v2, s[2:3]
.LBB29_457:
	s_or_b64 exec, exec, s[0:1]
	s_and_b64 vcc, exec, s[76:77]
	s_cbranch_vccz .LBB29_486
.LBB29_458:
	s_cmp_eq_u32 s72, 2
	s_cbranch_scc0 .LBB29_486
; %bb.459:
	s_lshl_b32 s2, s6, 8
	s_mov_b32 s7, 0
	s_lshr_b64 s[0:1], s[68:69], 8
	s_add_i32 s8, s73, s2
	s_cmp_lg_u64 s[0:1], s[6:7]
	s_cbranch_scc0 .LBB29_469
; %bb.460:
	v_add_u32_e32 v2, s8, v0
	v_lshlrev_b32_e32 v1, 12, v2
	s_mov_b32 s0, 0x7ed55d16
	v_add3_u32 v1, v2, v1, s0
	v_lshrrev_b32_e32 v3, 19, v1
	v_xor_b32_e32 v1, v1, v3
	v_xor_b32_e32 v1, 0xc761c23c, v1
	v_lshl_add_u32 v1, v1, 5, v1
	v_mov_b32_e32 v4, 0xaccf6200
	v_add_u32_e32 v3, 0xe9f8cc1d, v1
	v_lshl_add_u32 v1, v1, 9, v4
	v_xor_b32_e32 v1, v3, v1
	v_lshlrev_b32_e32 v3, 3, v1
	s_mov_b32 s0, 0xfd7046c5
	v_add3_u32 v1, v1, v3, s0
	v_xor_b32_sdwa v1, v1, v1 dst_sel:DWORD dst_unused:UNUSED_PAD src0_sel:DWORD src1_sel:WORD_1
	v_xor_b32_e32 v1, 0xb55a4f09, v1
	v_mul_hi_u32 v3, v1, 3
	v_sub_u32_e32 v4, v1, v3
	v_lshrrev_b32_e32 v4, 1, v4
	v_add_u32_e32 v3, v4, v3
	v_lshrrev_b32_e32 v3, 30, v3
	s_brev_b32 s0, -2
	v_mul_lo_u32 v3, v3, s0
	v_sub_u32_e32 v1, v1, v3
	v_max_u32_e32 v4, 1, v1
	s_movk_i32 s3, 0x2710
	v_mov_b32_e32 v1, 0
	s_mov_b32 s4, 0xbc8f1391
	s_mov_b32 s5, 0xbc8f
	s_brev_b32 s9, 12
	s_mov_b32 s10, 0xf800000
	v_mov_b32_e32 v3, 0x260
.LBB29_461:                             ; =>This Inner Loop Header: Depth=1
	v_mul_hi_u32 v5, v4, s4
	v_lshrrev_b32_e32 v5, 15, v5
	v_mul_u32_u24_e32 v7, 0xadc8, v5
	v_sub_u32_e32 v4, v4, v7
	v_mul_u32_u24_e32 v5, 0xd47, v5
	v_mul_lo_u32 v4, v4, s5
	v_xor_b32_e32 v7, 0x7fffffff, v5
	v_sub_u32_e32 v8, 0, v5
	v_cmp_lt_u32_e32 vcc, v4, v5
	v_cndmask_b32_e32 v5, v8, v7, vcc
	v_add_u32_e32 v4, v5, v4
	v_mul_hi_u32 v7, v4, s4
	v_lshrrev_b32_e32 v7, 15, v7
	v_mul_u32_u24_e32 v8, 0xadc8, v7
	v_add_u32_e32 v5, -1, v4
	v_sub_u32_e32 v4, v4, v8
	v_mul_u32_u24_e32 v7, 0xd47, v7
	v_mul_lo_u32 v4, v4, s5
	v_xor_b32_e32 v8, 0x7fffffff, v7
	v_sub_u32_e32 v9, 0, v7
	v_cmp_lt_u32_e32 vcc, v4, v7
	v_cndmask_b32_e32 v7, v9, v8, vcc
	v_add_u32_e32 v4, v7, v4
	v_mul_hi_u32 v8, v4, s4
	v_add_u32_e32 v7, -1, v4
	v_lshrrev_b32_e32 v8, 15, v8
	v_cvt_f32_u32_e32 v7, v7
	v_mul_u32_u24_e32 v9, 0xadc8, v8
	v_cvt_f32_u32_e32 v5, v5
	v_sub_u32_e32 v4, v4, v9
	v_mul_u32_u24_e32 v8, 0xd47, v8
	v_mul_lo_u32 v4, v4, s5
	v_xor_b32_e32 v9, 0x7fffffff, v8
	v_sub_u32_e32 v10, 0, v8
	v_cmp_lt_u32_e32 vcc, v4, v8
	v_fma_f32 v7, v7, s9, 0
	v_cndmask_b32_e32 v8, v10, v9, vcc
	v_fma_f32 v5, v5, s9, 0
	v_mul_f32_e32 v7, v7, v7
	v_add_u32_e32 v4, v8, v4
	v_fmac_f32_e32 v7, v5, v5
	v_mul_hi_u32 v8, v4, s4
	v_mul_f32_e32 v9, 0x4f800000, v7
	v_lshrrev_b32_e32 v8, 15, v8
	v_cmp_gt_f32_e32 vcc, s10, v7
	v_cndmask_b32_e32 v7, v7, v9, vcc
	v_mul_u32_u24_e32 v9, 0xadc8, v8
	v_add_u32_e32 v5, -1, v4
	v_sqrt_f32_e32 v10, v7
	v_sub_u32_e32 v4, v4, v9
	v_mul_u32_u24_e32 v8, 0xd47, v8
	v_mul_lo_u32 v4, v4, s5
	v_xor_b32_e32 v9, 0x7fffffff, v8
	v_sub_u32_e32 v11, 0, v8
	v_cmp_lt_u32_e64 s[0:1], v4, v8
	v_cndmask_b32_e64 v8, v11, v9, s[0:1]
	v_add_u32_e32 v4, v8, v4
	v_add_u32_e32 v8, -1, v10
	v_add_u32_e32 v9, 1, v10
	v_add_u32_e32 v11, -1, v4
	v_fma_f32 v12, -v8, v10, v7
	v_fma_f32 v13, -v9, v10, v7
	v_cvt_f32_u32_e32 v11, v11
	v_cmp_ge_f32_e64 s[0:1], 0, v12
	v_cvt_f32_u32_e32 v5, v5
	v_cndmask_b32_e64 v8, v10, v8, s[0:1]
	v_cmp_lt_f32_e64 s[0:1], 0, v13
	v_cndmask_b32_e64 v8, v8, v9, s[0:1]
	v_mul_f32_e32 v9, 0x37800000, v8
	v_cndmask_b32_e32 v8, v8, v9, vcc
	v_fma_f32 v9, v11, s9, 0
	v_cmp_class_f32_e32 vcc, v7, v3
	v_fma_f32 v5, v5, s9, 0
	v_cndmask_b32_e32 v7, v8, v7, vcc
	v_mul_f32_e32 v8, v9, v9
	v_add_f32_e32 v6, 1.0, v1
	v_cmp_nge_f32_e32 vcc, 1.0, v7
	v_fmac_f32_e32 v8, v5, v5
	v_cndmask_b32_e32 v1, v6, v1, vcc
	v_mul_f32_e32 v5, 0x4f800000, v8
	v_cmp_gt_f32_e32 vcc, s10, v8
	v_cndmask_b32_e32 v5, v8, v5, vcc
	v_sqrt_f32_e32 v7, v5
	s_add_i32 s3, s3, -2
	v_add_f32_e32 v6, 1.0, v1
	s_cmp_lg_u32 s3, 0
	v_add_u32_e32 v8, -1, v7
	v_add_u32_e32 v9, 1, v7
	v_fma_f32 v10, -v8, v7, v5
	v_fma_f32 v11, -v9, v7, v5
	v_cmp_ge_f32_e64 s[0:1], 0, v10
	v_cndmask_b32_e64 v7, v7, v8, s[0:1]
	v_cmp_lt_f32_e64 s[0:1], 0, v11
	v_cndmask_b32_e64 v7, v7, v9, s[0:1]
	v_mul_f32_e32 v8, 0x37800000, v7
	v_cndmask_b32_e32 v7, v7, v8, vcc
	v_cmp_class_f32_e32 vcc, v5, v3
	v_cndmask_b32_e32 v5, v7, v5, vcc
	v_cmp_nge_f32_e32 vcc, 1.0, v5
	v_cndmask_b32_e32 v1, v6, v1, vcc
	s_cbranch_scc1 .LBB29_461
; %bb.462:
	v_lshl_add_u32 v2, v2, 12, v2
	v_add_u32_e32 v2, 0x7edd5d96, v2
	v_lshrrev_b32_e32 v3, 19, v2
	v_xor_b32_e32 v2, v2, v3
	v_xor_b32_e32 v2, 0xc761c23c, v2
	v_lshl_add_u32 v2, v2, 5, v2
	v_mov_b32_e32 v4, 0xaccf6200
	v_add_u32_e32 v3, 0xe9f8cc1d, v2
	v_lshl_add_u32 v2, v2, 9, v4
	v_xor_b32_e32 v2, v3, v2
	v_lshlrev_b32_e32 v3, 3, v2
	s_mov_b32 s0, 0xfd7046c5
	v_add3_u32 v2, v2, v3, s0
	v_xor_b32_sdwa v2, v2, v2 dst_sel:DWORD dst_unused:UNUSED_PAD src0_sel:DWORD src1_sel:WORD_1
	v_xor_b32_e32 v2, 0xb55a4f09, v2
	v_mul_hi_u32 v3, v2, 3
	v_sub_u32_e32 v4, v2, v3
	v_lshrrev_b32_e32 v4, 1, v4
	v_add_u32_e32 v3, v4, v3
	v_lshrrev_b32_e32 v3, 30, v3
	s_brev_b32 s0, -2
	v_mul_lo_u32 v3, v3, s0
	v_sub_u32_e32 v2, v2, v3
	v_max_u32_e32 v4, 1, v2
	s_movk_i32 s3, 0x2710
	v_mov_b32_e32 v2, 0
	s_mov_b32 s4, 0xbc8f1391
	s_mov_b32 s5, 0xbc8f
	s_brev_b32 s9, 12
	s_mov_b32 s10, 0xf800000
	v_mov_b32_e32 v3, 0x260
.LBB29_463:                             ; =>This Inner Loop Header: Depth=1
	v_mul_hi_u32 v5, v4, s4
	v_lshrrev_b32_e32 v5, 15, v5
	v_mul_u32_u24_e32 v7, 0xadc8, v5
	v_sub_u32_e32 v4, v4, v7
	v_mul_u32_u24_e32 v5, 0xd47, v5
	v_mul_lo_u32 v4, v4, s5
	v_xor_b32_e32 v7, 0x7fffffff, v5
	v_sub_u32_e32 v8, 0, v5
	v_cmp_lt_u32_e32 vcc, v4, v5
	v_cndmask_b32_e32 v5, v8, v7, vcc
	v_add_u32_e32 v4, v5, v4
	v_mul_hi_u32 v7, v4, s4
	v_lshrrev_b32_e32 v7, 15, v7
	v_mul_u32_u24_e32 v8, 0xadc8, v7
	v_add_u32_e32 v5, -1, v4
	v_sub_u32_e32 v4, v4, v8
	v_mul_u32_u24_e32 v7, 0xd47, v7
	v_mul_lo_u32 v4, v4, s5
	v_xor_b32_e32 v8, 0x7fffffff, v7
	v_sub_u32_e32 v9, 0, v7
	v_cmp_lt_u32_e32 vcc, v4, v7
	v_cndmask_b32_e32 v7, v9, v8, vcc
	v_add_u32_e32 v4, v7, v4
	v_mul_hi_u32 v8, v4, s4
	v_add_u32_e32 v7, -1, v4
	v_lshrrev_b32_e32 v8, 15, v8
	v_cvt_f32_u32_e32 v7, v7
	v_mul_u32_u24_e32 v9, 0xadc8, v8
	v_cvt_f32_u32_e32 v5, v5
	v_sub_u32_e32 v4, v4, v9
	v_mul_u32_u24_e32 v8, 0xd47, v8
	v_mul_lo_u32 v4, v4, s5
	v_xor_b32_e32 v9, 0x7fffffff, v8
	v_sub_u32_e32 v10, 0, v8
	v_cmp_lt_u32_e32 vcc, v4, v8
	v_fma_f32 v7, v7, s9, 0
	v_cndmask_b32_e32 v8, v10, v9, vcc
	v_fma_f32 v5, v5, s9, 0
	v_mul_f32_e32 v7, v7, v7
	v_add_u32_e32 v4, v8, v4
	v_fmac_f32_e32 v7, v5, v5
	v_mul_hi_u32 v8, v4, s4
	v_mul_f32_e32 v9, 0x4f800000, v7
	v_lshrrev_b32_e32 v8, 15, v8
	v_cmp_gt_f32_e32 vcc, s10, v7
	v_cndmask_b32_e32 v7, v7, v9, vcc
	v_mul_u32_u24_e32 v9, 0xadc8, v8
	v_add_u32_e32 v5, -1, v4
	v_sqrt_f32_e32 v10, v7
	v_sub_u32_e32 v4, v4, v9
	v_mul_u32_u24_e32 v8, 0xd47, v8
	v_mul_lo_u32 v4, v4, s5
	v_xor_b32_e32 v9, 0x7fffffff, v8
	v_sub_u32_e32 v11, 0, v8
	v_cmp_lt_u32_e64 s[0:1], v4, v8
	v_cndmask_b32_e64 v8, v11, v9, s[0:1]
	v_add_u32_e32 v4, v8, v4
	v_add_u32_e32 v8, -1, v10
	v_add_u32_e32 v9, 1, v10
	v_add_u32_e32 v11, -1, v4
	v_fma_f32 v12, -v8, v10, v7
	v_fma_f32 v13, -v9, v10, v7
	v_cvt_f32_u32_e32 v11, v11
	v_cmp_ge_f32_e64 s[0:1], 0, v12
	v_cvt_f32_u32_e32 v5, v5
	v_cndmask_b32_e64 v8, v10, v8, s[0:1]
	v_cmp_lt_f32_e64 s[0:1], 0, v13
	v_cndmask_b32_e64 v8, v8, v9, s[0:1]
	v_mul_f32_e32 v9, 0x37800000, v8
	v_cndmask_b32_e32 v8, v8, v9, vcc
	v_fma_f32 v9, v11, s9, 0
	v_cmp_class_f32_e32 vcc, v7, v3
	v_fma_f32 v5, v5, s9, 0
	v_cndmask_b32_e32 v7, v8, v7, vcc
	v_mul_f32_e32 v8, v9, v9
	v_add_f32_e32 v6, 1.0, v2
	v_cmp_nge_f32_e32 vcc, 1.0, v7
	v_fmac_f32_e32 v8, v5, v5
	v_cndmask_b32_e32 v2, v6, v2, vcc
	v_mul_f32_e32 v5, 0x4f800000, v8
	v_cmp_gt_f32_e32 vcc, s10, v8
	v_cndmask_b32_e32 v5, v8, v5, vcc
	v_sqrt_f32_e32 v7, v5
	s_add_i32 s3, s3, -2
	v_add_f32_e32 v6, 1.0, v2
	s_cmp_lg_u32 s3, 0
	v_add_u32_e32 v8, -1, v7
	v_add_u32_e32 v9, 1, v7
	v_fma_f32 v10, -v8, v7, v5
	v_fma_f32 v11, -v9, v7, v5
	v_cmp_ge_f32_e64 s[0:1], 0, v10
	v_cndmask_b32_e64 v7, v7, v8, s[0:1]
	v_cmp_lt_f32_e64 s[0:1], 0, v11
	v_cndmask_b32_e64 v7, v7, v9, s[0:1]
	v_mul_f32_e32 v8, 0x37800000, v7
	v_cndmask_b32_e32 v7, v7, v8, vcc
	v_cmp_class_f32_e32 vcc, v5, v3
	v_cndmask_b32_e32 v5, v7, v5, vcc
	v_cmp_nge_f32_e32 vcc, 1.0, v5
	v_cndmask_b32_e32 v2, v6, v2, vcc
	s_cbranch_scc1 .LBB29_463
; %bb.464:
	v_mul_f32_e32 v1, 4.0, v1
	s_mov_b32 s3, 0x461c4000
	v_div_scale_f32 v3, s[0:1], s3, s3, v1
	v_rcp_f32_e32 v4, v3
	v_mul_f32_e32 v2, 4.0, v2
	v_fma_f32 v5, -v3, v4, 1.0
	v_fmac_f32_e32 v4, v5, v4
	v_div_scale_f32 v5, vcc, v1, s3, v1
	v_mul_f32_e32 v6, v5, v4
	v_fma_f32 v7, -v3, v6, v5
	v_fmac_f32_e32 v6, v7, v4
	v_fma_f32 v3, -v3, v6, v5
	v_div_scale_f32 v5, s[0:1], s3, s3, v2
	v_rcp_f32_e32 v7, v5
	v_div_fmas_f32 v3, v3, v4, v6
	v_div_fixup_f32 v1, v3, s3, v1
	v_fma_f32 v3, -v5, v7, 1.0
	v_fmac_f32_e32 v7, v3, v7
	v_div_scale_f32 v3, vcc, v2, s3, v2
	v_mul_f32_e32 v4, v3, v7
	v_fma_f32 v6, -v5, v4, v3
	v_fmac_f32_e32 v4, v6, v7
	v_fma_f32 v3, -v5, v4, v3
	v_div_fmas_f32 v3, v3, v7, v4
	v_div_fixup_f32 v2, v3, s3, v2
	v_add_f32_e32 v2, v1, v2
	v_mbcnt_lo_u32_b32 v1, -1, 0
	v_mbcnt_hi_u32_b32 v1, -1, v1
	v_add_f32_dpp v2, v2, v2 quad_perm:[1,0,3,2] row_mask:0xf bank_mask:0xf bound_ctrl:1
	v_lshlrev_b32_e32 v3, 2, v1
	v_or_b32_e32 v4, 0xfc, v3
	v_add_f32_dpp v2, v2, v2 quad_perm:[2,3,0,1] row_mask:0xf bank_mask:0xf bound_ctrl:1
	v_cmp_eq_u32_e32 vcc, 0, v1
	s_nop 0
	v_add_f32_dpp v2, v2, v2 row_ror:4 row_mask:0xf bank_mask:0xf bound_ctrl:1
	s_nop 1
	v_add_f32_dpp v2, v2, v2 row_ror:8 row_mask:0xf bank_mask:0xf bound_ctrl:1
	s_nop 1
	v_add_f32_dpp v2, v2, v2 row_bcast:15 row_mask:0xf bank_mask:0xf bound_ctrl:1
	s_nop 1
	v_add_f32_dpp v2, v2, v2 row_bcast:31 row_mask:0xf bank_mask:0xf bound_ctrl:1
	ds_bpermute_b32 v2, v4, v2
	s_and_saveexec_b64 s[0:1], vcc
	s_cbranch_execz .LBB29_466
; %bb.465:
	v_lshrrev_b32_e32 v4, 4, v0
	v_and_b32_e32 v4, 4, v4
	s_waitcnt lgkmcnt(0)
	ds_write_b32 v4, v2 offset:16
.LBB29_466:
	s_or_b64 exec, exec, s[0:1]
	v_cmp_gt_u32_e32 vcc, 64, v0
	s_waitcnt lgkmcnt(0)
	s_barrier
	s_and_saveexec_b64 s[0:1], vcc
	s_cbranch_execz .LBB29_468
; %bb.467:
	v_and_b32_e32 v1, 1, v1
	v_lshlrev_b32_e32 v1, 2, v1
	ds_read_b32 v1, v1 offset:16
	v_or_b32_e32 v2, 4, v3
	s_waitcnt lgkmcnt(0)
	ds_bpermute_b32 v2, v2, v1
	s_waitcnt lgkmcnt(0)
	v_add_f32_e32 v2, v1, v2
.LBB29_468:
	s_or_b64 exec, exec, s[0:1]
	s_branch .LBB29_483
.LBB29_469:
                                        ; implicit-def: $vgpr2
	s_cbranch_execz .LBB29_483
; %bb.470:
	s_sub_i32 s9, s68, s2
	v_cmp_gt_u32_e32 vcc, s9, v0
                                        ; implicit-def: $vgpr2_vgpr3
	s_and_saveexec_b64 s[2:3], vcc
	s_cbranch_execz .LBB29_474
; %bb.471:
	v_add_u32_e32 v1, s8, v0
	v_lshlrev_b32_e32 v2, 12, v1
	s_mov_b32 s0, 0x7ed55d16
	v_add3_u32 v1, v1, v2, s0
	v_lshrrev_b32_e32 v2, 19, v1
	v_xor_b32_e32 v1, v1, v2
	v_xor_b32_e32 v1, 0xc761c23c, v1
	v_lshl_add_u32 v1, v1, 5, v1
	v_mov_b32_e32 v3, 0xaccf6200
	v_add_u32_e32 v2, 0xe9f8cc1d, v1
	v_lshl_add_u32 v1, v1, 9, v3
	v_xor_b32_e32 v1, v2, v1
	v_lshlrev_b32_e32 v2, 3, v1
	s_mov_b32 s0, 0xfd7046c5
	v_add3_u32 v1, v1, v2, s0
	v_xor_b32_sdwa v1, v1, v1 dst_sel:DWORD dst_unused:UNUSED_PAD src0_sel:DWORD src1_sel:WORD_1
	v_xor_b32_e32 v1, 0xb55a4f09, v1
	v_mul_hi_u32 v2, v1, 3
	v_sub_u32_e32 v3, v1, v2
	v_lshrrev_b32_e32 v3, 1, v3
	v_add_u32_e32 v2, v3, v2
	v_lshrrev_b32_e32 v2, 30, v2
	s_brev_b32 s0, -2
	v_mul_lo_u32 v2, v2, s0
	v_sub_u32_e32 v1, v1, v2
	v_max_u32_e32 v3, 1, v1
	s_movk_i32 s4, 0x2710
	v_mov_b32_e32 v2, 0
	s_mov_b32 s5, 0xbc8f1391
	s_mov_b32 s10, 0xbc8f
	s_brev_b32 s11, 12
	s_mov_b32 s12, 0xf800000
	v_mov_b32_e32 v1, 0x260
.LBB29_472:                             ; =>This Inner Loop Header: Depth=1
	v_mul_hi_u32 v4, v3, s5
	v_lshrrev_b32_e32 v4, 15, v4
	v_mul_u32_u24_e32 v6, 0xadc8, v4
	v_sub_u32_e32 v3, v3, v6
	v_mul_u32_u24_e32 v4, 0xd47, v4
	v_mul_lo_u32 v3, v3, s10
	v_xor_b32_e32 v6, 0x7fffffff, v4
	v_sub_u32_e32 v7, 0, v4
	v_cmp_lt_u32_e32 vcc, v3, v4
	v_cndmask_b32_e32 v4, v7, v6, vcc
	v_add_u32_e32 v3, v4, v3
	v_mul_hi_u32 v6, v3, s5
	v_lshrrev_b32_e32 v6, 15, v6
	v_mul_u32_u24_e32 v7, 0xadc8, v6
	v_add_u32_e32 v4, -1, v3
	v_sub_u32_e32 v3, v3, v7
	v_mul_u32_u24_e32 v6, 0xd47, v6
	v_mul_lo_u32 v3, v3, s10
	v_xor_b32_e32 v7, 0x7fffffff, v6
	v_sub_u32_e32 v8, 0, v6
	v_cmp_lt_u32_e32 vcc, v3, v6
	v_cndmask_b32_e32 v6, v8, v7, vcc
	v_add_u32_e32 v3, v6, v3
	v_mul_hi_u32 v7, v3, s5
	v_add_u32_e32 v6, -1, v3
	v_lshrrev_b32_e32 v7, 15, v7
	v_cvt_f32_u32_e32 v6, v6
	v_mul_u32_u24_e32 v8, 0xadc8, v7
	v_cvt_f32_u32_e32 v4, v4
	v_sub_u32_e32 v3, v3, v8
	v_mul_u32_u24_e32 v7, 0xd47, v7
	v_mul_lo_u32 v3, v3, s10
	v_xor_b32_e32 v8, 0x7fffffff, v7
	v_sub_u32_e32 v9, 0, v7
	v_cmp_lt_u32_e32 vcc, v3, v7
	v_fma_f32 v6, v6, s11, 0
	v_cndmask_b32_e32 v7, v9, v8, vcc
	v_fma_f32 v4, v4, s11, 0
	v_mul_f32_e32 v6, v6, v6
	v_add_u32_e32 v3, v7, v3
	v_fmac_f32_e32 v6, v4, v4
	v_mul_hi_u32 v7, v3, s5
	v_mul_f32_e32 v8, 0x4f800000, v6
	v_lshrrev_b32_e32 v7, 15, v7
	v_cmp_gt_f32_e32 vcc, s12, v6
	v_cndmask_b32_e32 v6, v6, v8, vcc
	v_mul_u32_u24_e32 v8, 0xadc8, v7
	v_add_u32_e32 v4, -1, v3
	v_sqrt_f32_e32 v9, v6
	v_sub_u32_e32 v3, v3, v8
	v_mul_u32_u24_e32 v7, 0xd47, v7
	v_mul_lo_u32 v3, v3, s10
	v_xor_b32_e32 v8, 0x7fffffff, v7
	v_sub_u32_e32 v10, 0, v7
	v_cmp_lt_u32_e64 s[0:1], v3, v7
	v_cndmask_b32_e64 v7, v10, v8, s[0:1]
	v_add_u32_e32 v3, v7, v3
	v_add_u32_e32 v7, -1, v9
	v_add_u32_e32 v8, 1, v9
	v_add_u32_e32 v10, -1, v3
	v_fma_f32 v11, -v7, v9, v6
	v_fma_f32 v12, -v8, v9, v6
	v_cvt_f32_u32_e32 v10, v10
	v_cmp_ge_f32_e64 s[0:1], 0, v11
	v_cvt_f32_u32_e32 v4, v4
	v_cndmask_b32_e64 v7, v9, v7, s[0:1]
	v_cmp_lt_f32_e64 s[0:1], 0, v12
	v_cndmask_b32_e64 v7, v7, v8, s[0:1]
	v_mul_f32_e32 v8, 0x37800000, v7
	v_cndmask_b32_e32 v7, v7, v8, vcc
	v_fma_f32 v8, v10, s11, 0
	v_cmp_class_f32_e32 vcc, v6, v1
	v_fma_f32 v4, v4, s11, 0
	v_cndmask_b32_e32 v6, v7, v6, vcc
	v_mul_f32_e32 v7, v8, v8
	v_add_f32_e32 v5, 1.0, v2
	v_cmp_nge_f32_e32 vcc, 1.0, v6
	v_fmac_f32_e32 v7, v4, v4
	v_cndmask_b32_e32 v2, v5, v2, vcc
	v_mul_f32_e32 v4, 0x4f800000, v7
	v_cmp_gt_f32_e32 vcc, s12, v7
	v_cndmask_b32_e32 v4, v7, v4, vcc
	v_sqrt_f32_e32 v6, v4
	s_add_i32 s4, s4, -2
	v_add_f32_e32 v5, 1.0, v2
	s_cmp_lg_u32 s4, 0
	v_add_u32_e32 v7, -1, v6
	v_add_u32_e32 v8, 1, v6
	v_fma_f32 v9, -v7, v6, v4
	v_fma_f32 v10, -v8, v6, v4
	v_cmp_ge_f32_e64 s[0:1], 0, v9
	v_cndmask_b32_e64 v6, v6, v7, s[0:1]
	v_cmp_lt_f32_e64 s[0:1], 0, v10
	v_cndmask_b32_e64 v6, v6, v8, s[0:1]
	v_mul_f32_e32 v7, 0x37800000, v6
	v_cndmask_b32_e32 v6, v6, v7, vcc
	v_cmp_class_f32_e32 vcc, v4, v1
	v_cndmask_b32_e32 v4, v6, v4, vcc
	v_cmp_nge_f32_e32 vcc, 1.0, v4
	v_cndmask_b32_e32 v2, v5, v2, vcc
	s_cbranch_scc1 .LBB29_472
; %bb.473:
	v_mul_f32_e32 v1, 4.0, v2
	s_mov_b32 s4, 0x461c4000
	v_div_scale_f32 v2, s[0:1], s4, s4, v1
	v_rcp_f32_e32 v3, v2
	v_fma_f32 v4, -v2, v3, 1.0
	v_fmac_f32_e32 v3, v4, v3
	v_div_scale_f32 v4, vcc, v1, s4, v1
	v_mul_f32_e32 v5, v4, v3
	v_fma_f32 v6, -v2, v5, v4
	v_fmac_f32_e32 v5, v6, v3
	v_fma_f32 v2, -v2, v5, v4
	v_div_fmas_f32 v2, v2, v3, v5
	v_div_fixup_f32 v2, v2, s4, v1
.LBB29_474:
	s_or_b64 exec, exec, s[2:3]
	v_or_b32_e32 v1, 0x80, v0
	v_cmp_gt_u32_e64 s[0:1], s9, v1
	s_and_saveexec_b64 s[4:5], s[0:1]
	s_cbranch_execz .LBB29_478
; %bb.475:
	v_add_u32_e32 v1, s8, v1
	v_lshlrev_b32_e32 v3, 12, v1
	s_mov_b32 s2, 0x7ed55d16
	v_add3_u32 v1, v1, v3, s2
	v_lshrrev_b32_e32 v3, 19, v1
	v_xor_b32_e32 v1, v1, v3
	v_xor_b32_e32 v1, 0xc761c23c, v1
	v_lshl_add_u32 v1, v1, 5, v1
	v_mov_b32_e32 v4, 0xaccf6200
	v_add_u32_e32 v3, 0xe9f8cc1d, v1
	v_lshl_add_u32 v1, v1, 9, v4
	v_xor_b32_e32 v1, v3, v1
	v_lshlrev_b32_e32 v3, 3, v1
	s_mov_b32 s2, 0xfd7046c5
	v_add3_u32 v1, v1, v3, s2
	v_xor_b32_sdwa v1, v1, v1 dst_sel:DWORD dst_unused:UNUSED_PAD src0_sel:DWORD src1_sel:WORD_1
	v_xor_b32_e32 v1, 0xb55a4f09, v1
	v_mul_hi_u32 v3, v1, 3
	v_sub_u32_e32 v4, v1, v3
	v_lshrrev_b32_e32 v4, 1, v4
	v_add_u32_e32 v3, v4, v3
	v_lshrrev_b32_e32 v3, 30, v3
	s_brev_b32 s2, -2
	v_mul_lo_u32 v3, v3, s2
	v_sub_u32_e32 v1, v1, v3
	v_max_u32_e32 v4, 1, v1
	s_movk_i32 s8, 0x2710
	v_mov_b32_e32 v3, 0
	s_mov_b32 s10, 0xbc8f1391
	s_mov_b32 s11, 0xbc8f
	s_brev_b32 s12, 12
	s_mov_b32 s13, 0xf800000
	v_mov_b32_e32 v1, 0x260
.LBB29_476:                             ; =>This Inner Loop Header: Depth=1
	v_mul_hi_u32 v5, v4, s10
	v_lshrrev_b32_e32 v5, 15, v5
	v_mul_u32_u24_e32 v7, 0xadc8, v5
	v_sub_u32_e32 v4, v4, v7
	v_mul_u32_u24_e32 v5, 0xd47, v5
	v_mul_lo_u32 v4, v4, s11
	v_xor_b32_e32 v7, 0x7fffffff, v5
	v_sub_u32_e32 v8, 0, v5
	v_cmp_lt_u32_e32 vcc, v4, v5
	v_cndmask_b32_e32 v5, v8, v7, vcc
	v_add_u32_e32 v4, v5, v4
	v_mul_hi_u32 v7, v4, s10
	v_lshrrev_b32_e32 v7, 15, v7
	v_mul_u32_u24_e32 v8, 0xadc8, v7
	v_add_u32_e32 v5, -1, v4
	v_sub_u32_e32 v4, v4, v8
	v_mul_u32_u24_e32 v7, 0xd47, v7
	v_mul_lo_u32 v4, v4, s11
	v_xor_b32_e32 v8, 0x7fffffff, v7
	v_sub_u32_e32 v9, 0, v7
	v_cmp_lt_u32_e32 vcc, v4, v7
	v_cndmask_b32_e32 v7, v9, v8, vcc
	v_add_u32_e32 v4, v7, v4
	v_mul_hi_u32 v8, v4, s10
	v_add_u32_e32 v7, -1, v4
	v_lshrrev_b32_e32 v8, 15, v8
	v_cvt_f32_u32_e32 v7, v7
	v_mul_u32_u24_e32 v9, 0xadc8, v8
	v_cvt_f32_u32_e32 v5, v5
	v_sub_u32_e32 v4, v4, v9
	v_mul_u32_u24_e32 v8, 0xd47, v8
	v_mul_lo_u32 v4, v4, s11
	v_xor_b32_e32 v9, 0x7fffffff, v8
	v_sub_u32_e32 v10, 0, v8
	v_cmp_lt_u32_e32 vcc, v4, v8
	v_fma_f32 v7, v7, s12, 0
	v_cndmask_b32_e32 v8, v10, v9, vcc
	v_fma_f32 v5, v5, s12, 0
	v_mul_f32_e32 v7, v7, v7
	v_add_u32_e32 v4, v8, v4
	v_fmac_f32_e32 v7, v5, v5
	v_mul_hi_u32 v8, v4, s10
	v_mul_f32_e32 v9, 0x4f800000, v7
	v_lshrrev_b32_e32 v8, 15, v8
	v_cmp_gt_f32_e32 vcc, s13, v7
	v_cndmask_b32_e32 v7, v7, v9, vcc
	v_mul_u32_u24_e32 v9, 0xadc8, v8
	v_add_u32_e32 v5, -1, v4
	v_sqrt_f32_e32 v10, v7
	v_sub_u32_e32 v4, v4, v9
	v_mul_u32_u24_e32 v8, 0xd47, v8
	v_mul_lo_u32 v4, v4, s11
	v_xor_b32_e32 v9, 0x7fffffff, v8
	v_sub_u32_e32 v11, 0, v8
	v_cmp_lt_u32_e64 s[2:3], v4, v8
	v_cndmask_b32_e64 v8, v11, v9, s[2:3]
	v_add_u32_e32 v4, v8, v4
	v_add_u32_e32 v8, -1, v10
	v_add_u32_e32 v9, 1, v10
	v_add_u32_e32 v11, -1, v4
	v_fma_f32 v12, -v8, v10, v7
	v_fma_f32 v13, -v9, v10, v7
	v_cvt_f32_u32_e32 v11, v11
	v_cmp_ge_f32_e64 s[2:3], 0, v12
	v_cvt_f32_u32_e32 v5, v5
	v_cndmask_b32_e64 v8, v10, v8, s[2:3]
	v_cmp_lt_f32_e64 s[2:3], 0, v13
	v_cndmask_b32_e64 v8, v8, v9, s[2:3]
	v_mul_f32_e32 v9, 0x37800000, v8
	v_cndmask_b32_e32 v8, v8, v9, vcc
	v_fma_f32 v9, v11, s12, 0
	v_cmp_class_f32_e32 vcc, v7, v1
	v_fma_f32 v5, v5, s12, 0
	v_cndmask_b32_e32 v7, v8, v7, vcc
	v_mul_f32_e32 v8, v9, v9
	v_add_f32_e32 v6, 1.0, v3
	v_cmp_nge_f32_e32 vcc, 1.0, v7
	v_fmac_f32_e32 v8, v5, v5
	v_cndmask_b32_e32 v3, v6, v3, vcc
	v_mul_f32_e32 v5, 0x4f800000, v8
	v_cmp_gt_f32_e32 vcc, s13, v8
	v_cndmask_b32_e32 v5, v8, v5, vcc
	v_sqrt_f32_e32 v7, v5
	s_add_i32 s8, s8, -2
	v_add_f32_e32 v6, 1.0, v3
	s_cmp_lg_u32 s8, 0
	v_add_u32_e32 v8, -1, v7
	v_add_u32_e32 v9, 1, v7
	v_fma_f32 v10, -v8, v7, v5
	v_fma_f32 v11, -v9, v7, v5
	v_cmp_ge_f32_e64 s[2:3], 0, v10
	v_cndmask_b32_e64 v7, v7, v8, s[2:3]
	v_cmp_lt_f32_e64 s[2:3], 0, v11
	v_cndmask_b32_e64 v7, v7, v9, s[2:3]
	v_mul_f32_e32 v8, 0x37800000, v7
	v_cndmask_b32_e32 v7, v7, v8, vcc
	v_cmp_class_f32_e32 vcc, v5, v1
	v_cndmask_b32_e32 v5, v7, v5, vcc
	v_cmp_nge_f32_e32 vcc, 1.0, v5
	v_cndmask_b32_e32 v3, v6, v3, vcc
	s_cbranch_scc1 .LBB29_476
; %bb.477:
	v_mul_f32_e32 v1, 4.0, v3
	s_mov_b32 s8, 0x461c4000
	v_div_scale_f32 v3, s[2:3], s8, s8, v1
	v_rcp_f32_e32 v4, v3
	v_fma_f32 v5, -v3, v4, 1.0
	v_fmac_f32_e32 v4, v5, v4
	v_div_scale_f32 v5, vcc, v1, s8, v1
	v_mul_f32_e32 v6, v5, v4
	v_fma_f32 v7, -v3, v6, v5
	v_fmac_f32_e32 v6, v7, v4
	v_fma_f32 v3, -v3, v6, v5
	v_div_fmas_f32 v3, v3, v4, v6
	v_div_fixup_f32 v3, v3, s8, v1
.LBB29_478:
	s_or_b64 exec, exec, s[4:5]
	v_add_f32_e32 v1, v2, v3
	v_cndmask_b32_e64 v2, v2, v1, s[0:1]
	v_mbcnt_lo_u32_b32 v1, -1, 0
	v_mbcnt_hi_u32_b32 v1, -1, v1
	v_and_b32_e32 v3, 63, v1
	v_cmp_ne_u32_e32 vcc, 63, v3
	v_addc_co_u32_e32 v4, vcc, 0, v1, vcc
	v_lshlrev_b32_e32 v4, 2, v4
	ds_bpermute_b32 v4, v4, v2
	s_min_u32 s2, s9, 0x80
	v_and_b32_e32 v5, 64, v0
	v_sub_u32_e64 v5, s2, v5 clamp
	v_add_u32_e32 v6, 1, v3
	v_cmp_gt_u32_e64 s[0:1], 62, v3
	v_cmp_lt_u32_e32 vcc, v6, v5
	v_cndmask_b32_e64 v6, 0, 1, s[0:1]
	s_waitcnt lgkmcnt(0)
	v_add_f32_e32 v4, v2, v4
	v_lshlrev_b32_e32 v6, 1, v6
	v_cndmask_b32_e32 v4, v2, v4, vcc
	v_add_lshl_u32 v6, v6, v1, 2
	ds_bpermute_b32 v6, v6, v4
	v_add_u32_e32 v7, 2, v3
	v_cmp_lt_u32_e64 s[0:1], v7, v5
	v_add_u32_e32 v7, 4, v3
	s_waitcnt lgkmcnt(0)
	v_add_f32_e32 v6, v4, v6
	v_cndmask_b32_e64 v4, v4, v6, s[0:1]
	v_cmp_gt_u32_e64 s[0:1], 60, v3
	v_cndmask_b32_e64 v6, 0, 1, s[0:1]
	v_lshlrev_b32_e32 v6, 2, v6
	v_add_lshl_u32 v6, v6, v1, 2
	ds_bpermute_b32 v6, v6, v4
	v_cmp_lt_u32_e64 s[0:1], v7, v5
	v_add_u32_e32 v7, 8, v3
	s_waitcnt lgkmcnt(0)
	v_add_f32_e32 v6, v4, v6
	v_cndmask_b32_e64 v4, v4, v6, s[0:1]
	v_cmp_gt_u32_e64 s[0:1], 56, v3
	v_cndmask_b32_e64 v6, 0, 1, s[0:1]
	v_lshlrev_b32_e32 v6, 3, v6
	v_add_lshl_u32 v6, v6, v1, 2
	ds_bpermute_b32 v6, v6, v4
	v_cmp_lt_u32_e64 s[0:1], v7, v5
	v_add_u32_e32 v7, 16, v3
	s_waitcnt lgkmcnt(0)
	v_add_f32_e32 v6, v4, v6
	v_cndmask_b32_e64 v4, v4, v6, s[0:1]
	v_cmp_gt_u32_e64 s[0:1], 48, v3
	v_cndmask_b32_e64 v6, 0, 1, s[0:1]
	v_lshlrev_b32_e32 v6, 4, v6
	v_add_lshl_u32 v6, v6, v1, 2
	ds_bpermute_b32 v6, v6, v4
	v_cmp_lt_u32_e64 s[0:1], v7, v5
	s_waitcnt lgkmcnt(0)
	v_add_f32_e32 v6, v4, v6
	v_cndmask_b32_e64 v4, v4, v6, s[0:1]
	v_cmp_gt_u32_e64 s[0:1], 32, v3
	v_cndmask_b32_e64 v6, 0, 1, s[0:1]
	v_lshlrev_b32_e32 v6, 5, v6
	v_add_lshl_u32 v6, v6, v1, 2
	ds_bpermute_b32 v6, v6, v4
	v_add_u32_e32 v3, 32, v3
	v_cmp_lt_u32_e64 s[0:1], v3, v5
	s_waitcnt lgkmcnt(0)
	v_add_f32_e32 v6, v4, v6
	v_cndmask_b32_e64 v3, v4, v6, s[0:1]
	v_cndmask_b32_e32 v2, v2, v3, vcc
	v_cmp_eq_u32_e32 vcc, 0, v1
	s_and_saveexec_b64 s[0:1], vcc
	s_cbranch_execz .LBB29_480
; %bb.479:
	v_lshrrev_b32_e32 v3, 4, v0
	v_and_b32_e32 v3, 4, v3
	ds_write_b32 v3, v2 offset:48
.LBB29_480:
	s_or_b64 exec, exec, s[0:1]
	v_cmp_gt_u32_e32 vcc, 2, v0
	s_waitcnt lgkmcnt(0)
	s_barrier
	s_and_saveexec_b64 s[0:1], vcc
	s_cbranch_execz .LBB29_482
; %bb.481:
	v_lshlrev_b32_e32 v2, 2, v1
	ds_read_b32 v3, v2 offset:48
	v_or_b32_e32 v2, 4, v2
	s_add_i32 s2, s2, 63
	v_and_b32_e32 v1, 1, v1
	s_lshr_b32 s2, s2, 6
	s_waitcnt lgkmcnt(0)
	ds_bpermute_b32 v2, v2, v3
	v_add_u32_e32 v1, 1, v1
	v_cmp_gt_u32_e32 vcc, s2, v1
	s_waitcnt lgkmcnt(0)
	v_add_f32_e32 v2, v3, v2
	v_cndmask_b32_e32 v2, v3, v2, vcc
.LBB29_482:
	s_or_b64 exec, exec, s[0:1]
.LBB29_483:
	v_cmp_eq_u32_e32 vcc, 0, v0
	s_and_saveexec_b64 s[0:1], vcc
	s_cbranch_execz .LBB29_485
; %bb.484:
	s_cmp_eq_u64 s[68:69], 0
	s_cselect_b64 vcc, -1, 0
	s_lshl_b64 s[2:3], s[6:7], 2
	v_add_f32_e32 v1, s33, v2
	v_mov_b32_e32 v2, s33
	s_add_u32 s2, s70, s2
	v_cndmask_b32_e32 v1, v1, v2, vcc
	s_addc_u32 s3, s71, s3
	v_mov_b32_e32 v2, 0
	global_store_dword v2, v1, s[2:3]
.LBB29_485:
	s_or_b64 exec, exec, s[0:1]
.LBB29_486:
	s_andn2_b64 vcc, exec, s[74:75]
	s_cbranch_vccnz .LBB29_508
; %bb.487:
	s_cmp_eq_u32 s72, 1
	s_cbranch_scc0 .LBB29_508
; %bb.488:
	s_lshl_b32 s4, s6, 7
	s_mov_b32 s7, 0
	s_lshr_b64 s[0:1], s[68:69], 7
	s_cmp_lg_u64 s[0:1], s[6:7]
	s_cbranch_scc0 .LBB29_496
; %bb.489:
	s_add_i32 s0, s73, s4
	v_add_u32_e32 v1, s0, v0
	v_lshlrev_b32_e32 v2, 12, v1
	s_mov_b32 s0, 0x7ed55d16
	v_add3_u32 v1, v1, v2, s0
	v_lshrrev_b32_e32 v2, 19, v1
	v_xor_b32_e32 v1, v1, v2
	v_xor_b32_e32 v1, 0xc761c23c, v1
	v_lshl_add_u32 v1, v1, 5, v1
	v_mov_b32_e32 v3, 0xaccf6200
	v_add_u32_e32 v2, 0xe9f8cc1d, v1
	v_lshl_add_u32 v1, v1, 9, v3
	v_xor_b32_e32 v1, v2, v1
	v_lshlrev_b32_e32 v2, 3, v1
	s_mov_b32 s0, 0xfd7046c5
	v_add3_u32 v1, v1, v2, s0
	v_xor_b32_sdwa v1, v1, v1 dst_sel:DWORD dst_unused:UNUSED_PAD src0_sel:DWORD src1_sel:WORD_1
	v_xor_b32_e32 v1, 0xb55a4f09, v1
	v_mul_hi_u32 v2, v1, 3
	v_sub_u32_e32 v3, v1, v2
	v_lshrrev_b32_e32 v3, 1, v3
	v_add_u32_e32 v2, v3, v2
	v_lshrrev_b32_e32 v2, 30, v2
	s_brev_b32 s0, -2
	v_mul_lo_u32 v2, v2, s0
	v_sub_u32_e32 v1, v1, v2
	v_max_u32_e32 v3, 1, v1
	s_movk_i32 s2, 0x2710
	v_mov_b32_e32 v2, 0
	s_mov_b32 s3, 0xbc8f1391
	s_mov_b32 s5, 0xbc8f
	s_brev_b32 s8, 12
	s_mov_b32 s9, 0xf800000
	v_mov_b32_e32 v1, 0x260
.LBB29_490:                             ; =>This Inner Loop Header: Depth=1
	v_mul_hi_u32 v4, v3, s3
	v_lshrrev_b32_e32 v4, 15, v4
	v_mul_u32_u24_e32 v6, 0xadc8, v4
	v_sub_u32_e32 v3, v3, v6
	v_mul_u32_u24_e32 v4, 0xd47, v4
	v_mul_lo_u32 v3, v3, s5
	v_xor_b32_e32 v6, 0x7fffffff, v4
	v_sub_u32_e32 v7, 0, v4
	v_cmp_lt_u32_e32 vcc, v3, v4
	v_cndmask_b32_e32 v4, v7, v6, vcc
	v_add_u32_e32 v3, v4, v3
	v_mul_hi_u32 v6, v3, s3
	v_lshrrev_b32_e32 v6, 15, v6
	v_mul_u32_u24_e32 v7, 0xadc8, v6
	v_add_u32_e32 v4, -1, v3
	v_sub_u32_e32 v3, v3, v7
	v_mul_u32_u24_e32 v6, 0xd47, v6
	v_mul_lo_u32 v3, v3, s5
	v_xor_b32_e32 v7, 0x7fffffff, v6
	v_sub_u32_e32 v8, 0, v6
	v_cmp_lt_u32_e32 vcc, v3, v6
	v_cndmask_b32_e32 v6, v8, v7, vcc
	v_add_u32_e32 v3, v6, v3
	v_mul_hi_u32 v7, v3, s3
	v_add_u32_e32 v6, -1, v3
	v_lshrrev_b32_e32 v7, 15, v7
	v_cvt_f32_u32_e32 v6, v6
	v_mul_u32_u24_e32 v8, 0xadc8, v7
	v_cvt_f32_u32_e32 v4, v4
	v_sub_u32_e32 v3, v3, v8
	v_mul_u32_u24_e32 v7, 0xd47, v7
	v_mul_lo_u32 v3, v3, s5
	v_xor_b32_e32 v8, 0x7fffffff, v7
	v_sub_u32_e32 v9, 0, v7
	v_cmp_lt_u32_e32 vcc, v3, v7
	v_fma_f32 v6, v6, s8, 0
	v_cndmask_b32_e32 v7, v9, v8, vcc
	v_fma_f32 v4, v4, s8, 0
	v_mul_f32_e32 v6, v6, v6
	v_add_u32_e32 v3, v7, v3
	v_fmac_f32_e32 v6, v4, v4
	v_mul_hi_u32 v7, v3, s3
	v_mul_f32_e32 v8, 0x4f800000, v6
	v_lshrrev_b32_e32 v7, 15, v7
	v_cmp_gt_f32_e32 vcc, s9, v6
	v_cndmask_b32_e32 v6, v6, v8, vcc
	v_mul_u32_u24_e32 v8, 0xadc8, v7
	v_add_u32_e32 v4, -1, v3
	v_sqrt_f32_e32 v9, v6
	v_sub_u32_e32 v3, v3, v8
	v_mul_u32_u24_e32 v7, 0xd47, v7
	v_mul_lo_u32 v3, v3, s5
	v_xor_b32_e32 v8, 0x7fffffff, v7
	v_sub_u32_e32 v10, 0, v7
	v_cmp_lt_u32_e64 s[0:1], v3, v7
	v_cndmask_b32_e64 v7, v10, v8, s[0:1]
	v_add_u32_e32 v3, v7, v3
	v_add_u32_e32 v7, -1, v9
	v_add_u32_e32 v8, 1, v9
	v_add_u32_e32 v10, -1, v3
	v_fma_f32 v11, -v7, v9, v6
	v_fma_f32 v12, -v8, v9, v6
	v_cvt_f32_u32_e32 v10, v10
	v_cmp_ge_f32_e64 s[0:1], 0, v11
	v_cvt_f32_u32_e32 v4, v4
	v_cndmask_b32_e64 v7, v9, v7, s[0:1]
	v_cmp_lt_f32_e64 s[0:1], 0, v12
	v_cndmask_b32_e64 v7, v7, v8, s[0:1]
	v_mul_f32_e32 v8, 0x37800000, v7
	v_cndmask_b32_e32 v7, v7, v8, vcc
	v_fma_f32 v8, v10, s8, 0
	v_cmp_class_f32_e32 vcc, v6, v1
	v_fma_f32 v4, v4, s8, 0
	v_cndmask_b32_e32 v6, v7, v6, vcc
	v_mul_f32_e32 v7, v8, v8
	v_add_f32_e32 v5, 1.0, v2
	v_cmp_nge_f32_e32 vcc, 1.0, v6
	v_fmac_f32_e32 v7, v4, v4
	v_cndmask_b32_e32 v2, v5, v2, vcc
	v_mul_f32_e32 v4, 0x4f800000, v7
	v_cmp_gt_f32_e32 vcc, s9, v7
	v_cndmask_b32_e32 v4, v7, v4, vcc
	v_sqrt_f32_e32 v6, v4
	s_add_i32 s2, s2, -2
	v_add_f32_e32 v5, 1.0, v2
	s_cmp_lg_u32 s2, 0
	v_add_u32_e32 v7, -1, v6
	v_add_u32_e32 v8, 1, v6
	v_fma_f32 v9, -v7, v6, v4
	v_fma_f32 v10, -v8, v6, v4
	v_cmp_ge_f32_e64 s[0:1], 0, v9
	v_cndmask_b32_e64 v6, v6, v7, s[0:1]
	v_cmp_lt_f32_e64 s[0:1], 0, v10
	v_cndmask_b32_e64 v6, v6, v8, s[0:1]
	v_mul_f32_e32 v7, 0x37800000, v6
	v_cndmask_b32_e32 v6, v6, v7, vcc
	v_cmp_class_f32_e32 vcc, v4, v1
	v_cndmask_b32_e32 v4, v6, v4, vcc
	v_cmp_nge_f32_e32 vcc, 1.0, v4
	v_cndmask_b32_e32 v2, v5, v2, vcc
	s_cbranch_scc1 .LBB29_490
; %bb.491:
	v_mul_f32_e32 v1, 4.0, v2
	s_mov_b32 s2, 0x461c4000
	v_div_scale_f32 v2, s[0:1], s2, s2, v1
	v_rcp_f32_e32 v3, v2
	v_fma_f32 v4, -v2, v3, 1.0
	v_fmac_f32_e32 v3, v4, v3
	v_div_scale_f32 v4, vcc, v1, s2, v1
	v_mul_f32_e32 v5, v4, v3
	v_fma_f32 v6, -v2, v5, v4
	v_fmac_f32_e32 v5, v6, v3
	v_fma_f32 v2, -v2, v5, v4
	v_div_fmas_f32 v2, v2, v3, v5
	v_div_fixup_f32 v2, v2, s2, v1
	v_mbcnt_lo_u32_b32 v1, -1, 0
	v_mbcnt_hi_u32_b32 v1, -1, v1
	v_add_f32_dpp v2, v2, v2 quad_perm:[1,0,3,2] row_mask:0xf bank_mask:0xf bound_ctrl:1
	v_lshlrev_b32_e32 v3, 2, v1
	v_or_b32_e32 v4, 0xfc, v3
	v_add_f32_dpp v2, v2, v2 quad_perm:[2,3,0,1] row_mask:0xf bank_mask:0xf bound_ctrl:1
	v_cmp_eq_u32_e32 vcc, 0, v1
	s_nop 0
	v_add_f32_dpp v2, v2, v2 row_ror:4 row_mask:0xf bank_mask:0xf bound_ctrl:1
	s_nop 1
	v_add_f32_dpp v2, v2, v2 row_ror:8 row_mask:0xf bank_mask:0xf bound_ctrl:1
	s_nop 1
	v_add_f32_dpp v2, v2, v2 row_bcast:15 row_mask:0xf bank_mask:0xf bound_ctrl:1
	s_nop 1
	v_add_f32_dpp v2, v2, v2 row_bcast:31 row_mask:0xf bank_mask:0xf bound_ctrl:1
	ds_bpermute_b32 v2, v4, v2
	s_and_saveexec_b64 s[0:1], vcc
	s_cbranch_execz .LBB29_493
; %bb.492:
	v_lshrrev_b32_e32 v4, 4, v0
	v_and_b32_e32 v4, 4, v4
	s_waitcnt lgkmcnt(0)
	ds_write_b32 v4, v2 offset:8
.LBB29_493:
	s_or_b64 exec, exec, s[0:1]
	v_cmp_gt_u32_e32 vcc, 64, v0
	s_waitcnt lgkmcnt(0)
	s_barrier
	s_and_saveexec_b64 s[0:1], vcc
	s_cbranch_execz .LBB29_495
; %bb.494:
	v_and_b32_e32 v1, 1, v1
	v_lshlrev_b32_e32 v1, 2, v1
	ds_read_b32 v1, v1 offset:8
	v_or_b32_e32 v2, 4, v3
	s_waitcnt lgkmcnt(0)
	ds_bpermute_b32 v2, v2, v1
	s_waitcnt lgkmcnt(0)
	v_add_f32_e32 v2, v1, v2
.LBB29_495:
	s_or_b64 exec, exec, s[0:1]
	s_branch .LBB29_506
.LBB29_496:
                                        ; implicit-def: $vgpr2
	s_cbranch_execz .LBB29_506
; %bb.497:
	s_sub_i32 s5, s68, s4
	v_cmp_gt_u32_e32 vcc, s5, v0
                                        ; implicit-def: $vgpr2
	s_and_saveexec_b64 s[2:3], vcc
	s_cbranch_execz .LBB29_501
; %bb.498:
	s_add_i32 s0, s73, s4
	v_add_u32_e32 v1, s0, v0
	v_lshlrev_b32_e32 v2, 12, v1
	s_mov_b32 s0, 0x7ed55d16
	v_add3_u32 v1, v1, v2, s0
	v_lshrrev_b32_e32 v2, 19, v1
	v_xor_b32_e32 v1, v1, v2
	v_xor_b32_e32 v1, 0xc761c23c, v1
	v_lshl_add_u32 v1, v1, 5, v1
	v_mov_b32_e32 v3, 0xaccf6200
	v_add_u32_e32 v2, 0xe9f8cc1d, v1
	v_lshl_add_u32 v1, v1, 9, v3
	v_xor_b32_e32 v1, v2, v1
	v_lshlrev_b32_e32 v2, 3, v1
	s_mov_b32 s0, 0xfd7046c5
	v_add3_u32 v1, v1, v2, s0
	v_xor_b32_sdwa v1, v1, v1 dst_sel:DWORD dst_unused:UNUSED_PAD src0_sel:DWORD src1_sel:WORD_1
	v_xor_b32_e32 v1, 0xb55a4f09, v1
	v_mul_hi_u32 v2, v1, 3
	v_sub_u32_e32 v3, v1, v2
	v_lshrrev_b32_e32 v3, 1, v3
	v_add_u32_e32 v2, v3, v2
	v_lshrrev_b32_e32 v2, 30, v2
	s_brev_b32 s0, -2
	v_mul_lo_u32 v2, v2, s0
	v_sub_u32_e32 v1, v1, v2
	v_max_u32_e32 v3, 1, v1
	s_movk_i32 s4, 0x2710
	v_mov_b32_e32 v2, 0
	s_mov_b32 s8, 0xbc8f1391
	s_mov_b32 s9, 0xbc8f
	s_brev_b32 s10, 12
	s_mov_b32 s11, 0xf800000
	v_mov_b32_e32 v1, 0x260
.LBB29_499:                             ; =>This Inner Loop Header: Depth=1
	v_mul_hi_u32 v4, v3, s8
	v_lshrrev_b32_e32 v4, 15, v4
	v_mul_u32_u24_e32 v6, 0xadc8, v4
	v_sub_u32_e32 v3, v3, v6
	v_mul_u32_u24_e32 v4, 0xd47, v4
	v_mul_lo_u32 v3, v3, s9
	v_xor_b32_e32 v6, 0x7fffffff, v4
	v_sub_u32_e32 v7, 0, v4
	v_cmp_lt_u32_e32 vcc, v3, v4
	v_cndmask_b32_e32 v4, v7, v6, vcc
	v_add_u32_e32 v3, v4, v3
	v_mul_hi_u32 v6, v3, s8
	v_lshrrev_b32_e32 v6, 15, v6
	v_mul_u32_u24_e32 v7, 0xadc8, v6
	v_add_u32_e32 v4, -1, v3
	v_sub_u32_e32 v3, v3, v7
	v_mul_u32_u24_e32 v6, 0xd47, v6
	v_mul_lo_u32 v3, v3, s9
	v_xor_b32_e32 v7, 0x7fffffff, v6
	v_sub_u32_e32 v8, 0, v6
	v_cmp_lt_u32_e32 vcc, v3, v6
	v_cndmask_b32_e32 v6, v8, v7, vcc
	v_add_u32_e32 v3, v6, v3
	v_mul_hi_u32 v7, v3, s8
	v_add_u32_e32 v6, -1, v3
	v_lshrrev_b32_e32 v7, 15, v7
	v_cvt_f32_u32_e32 v6, v6
	v_mul_u32_u24_e32 v8, 0xadc8, v7
	v_cvt_f32_u32_e32 v4, v4
	v_sub_u32_e32 v3, v3, v8
	v_mul_u32_u24_e32 v7, 0xd47, v7
	v_mul_lo_u32 v3, v3, s9
	v_xor_b32_e32 v8, 0x7fffffff, v7
	v_sub_u32_e32 v9, 0, v7
	v_cmp_lt_u32_e32 vcc, v3, v7
	v_fma_f32 v6, v6, s10, 0
	v_cndmask_b32_e32 v7, v9, v8, vcc
	v_fma_f32 v4, v4, s10, 0
	v_mul_f32_e32 v6, v6, v6
	v_add_u32_e32 v3, v7, v3
	v_fmac_f32_e32 v6, v4, v4
	v_mul_hi_u32 v7, v3, s8
	v_mul_f32_e32 v8, 0x4f800000, v6
	v_lshrrev_b32_e32 v7, 15, v7
	v_cmp_gt_f32_e32 vcc, s11, v6
	v_cndmask_b32_e32 v6, v6, v8, vcc
	v_mul_u32_u24_e32 v8, 0xadc8, v7
	v_add_u32_e32 v4, -1, v3
	v_sqrt_f32_e32 v9, v6
	v_sub_u32_e32 v3, v3, v8
	v_mul_u32_u24_e32 v7, 0xd47, v7
	v_mul_lo_u32 v3, v3, s9
	v_xor_b32_e32 v8, 0x7fffffff, v7
	v_sub_u32_e32 v10, 0, v7
	v_cmp_lt_u32_e64 s[0:1], v3, v7
	v_cndmask_b32_e64 v7, v10, v8, s[0:1]
	v_add_u32_e32 v3, v7, v3
	v_add_u32_e32 v7, -1, v9
	v_add_u32_e32 v8, 1, v9
	v_add_u32_e32 v10, -1, v3
	v_fma_f32 v11, -v7, v9, v6
	v_fma_f32 v12, -v8, v9, v6
	v_cvt_f32_u32_e32 v10, v10
	v_cmp_ge_f32_e64 s[0:1], 0, v11
	v_cvt_f32_u32_e32 v4, v4
	v_cndmask_b32_e64 v7, v9, v7, s[0:1]
	v_cmp_lt_f32_e64 s[0:1], 0, v12
	v_cndmask_b32_e64 v7, v7, v8, s[0:1]
	v_mul_f32_e32 v8, 0x37800000, v7
	v_cndmask_b32_e32 v7, v7, v8, vcc
	v_fma_f32 v8, v10, s10, 0
	v_cmp_class_f32_e32 vcc, v6, v1
	v_fma_f32 v4, v4, s10, 0
	v_cndmask_b32_e32 v6, v7, v6, vcc
	v_mul_f32_e32 v7, v8, v8
	v_add_f32_e32 v5, 1.0, v2
	v_cmp_nge_f32_e32 vcc, 1.0, v6
	v_fmac_f32_e32 v7, v4, v4
	v_cndmask_b32_e32 v2, v5, v2, vcc
	v_mul_f32_e32 v4, 0x4f800000, v7
	v_cmp_gt_f32_e32 vcc, s11, v7
	v_cndmask_b32_e32 v4, v7, v4, vcc
	v_sqrt_f32_e32 v6, v4
	s_add_i32 s4, s4, -2
	v_add_f32_e32 v5, 1.0, v2
	s_cmp_lg_u32 s4, 0
	v_add_u32_e32 v7, -1, v6
	v_add_u32_e32 v8, 1, v6
	v_fma_f32 v9, -v7, v6, v4
	v_fma_f32 v10, -v8, v6, v4
	v_cmp_ge_f32_e64 s[0:1], 0, v9
	v_cndmask_b32_e64 v6, v6, v7, s[0:1]
	v_cmp_lt_f32_e64 s[0:1], 0, v10
	v_cndmask_b32_e64 v6, v6, v8, s[0:1]
	v_mul_f32_e32 v7, 0x37800000, v6
	v_cndmask_b32_e32 v6, v6, v7, vcc
	v_cmp_class_f32_e32 vcc, v4, v1
	v_cndmask_b32_e32 v4, v6, v4, vcc
	v_cmp_nge_f32_e32 vcc, 1.0, v4
	v_cndmask_b32_e32 v2, v5, v2, vcc
	s_cbranch_scc1 .LBB29_499
; %bb.500:
	v_mul_f32_e32 v1, 4.0, v2
	s_mov_b32 s4, 0x461c4000
	v_div_scale_f32 v2, s[0:1], s4, s4, v1
	v_rcp_f32_e32 v3, v2
	v_fma_f32 v4, -v2, v3, 1.0
	v_fmac_f32_e32 v3, v4, v3
	v_div_scale_f32 v4, vcc, v1, s4, v1
	v_mul_f32_e32 v5, v4, v3
	v_fma_f32 v6, -v2, v5, v4
	v_fmac_f32_e32 v5, v6, v3
	v_fma_f32 v2, -v2, v5, v4
	v_div_fmas_f32 v2, v2, v3, v5
	v_div_fixup_f32 v2, v2, s4, v1
.LBB29_501:
	s_or_b64 exec, exec, s[2:3]
	v_mbcnt_lo_u32_b32 v1, -1, 0
	v_mbcnt_hi_u32_b32 v1, -1, v1
	v_and_b32_e32 v3, 63, v1
	v_cmp_ne_u32_e32 vcc, 63, v3
	v_addc_co_u32_e32 v4, vcc, 0, v1, vcc
	v_lshlrev_b32_e32 v4, 2, v4
	ds_bpermute_b32 v4, v4, v2
	s_min_u32 s2, s5, 0x80
	v_and_b32_e32 v5, 64, v0
	v_sub_u32_e64 v5, s2, v5 clamp
	v_add_u32_e32 v6, 1, v3
	v_cmp_gt_u32_e64 s[0:1], 62, v3
	v_cmp_lt_u32_e32 vcc, v6, v5
	v_cndmask_b32_e64 v6, 0, 1, s[0:1]
	s_waitcnt lgkmcnt(0)
	v_add_f32_e32 v4, v2, v4
	v_lshlrev_b32_e32 v6, 1, v6
	v_cndmask_b32_e32 v4, v2, v4, vcc
	v_add_lshl_u32 v6, v6, v1, 2
	ds_bpermute_b32 v6, v6, v4
	v_add_u32_e32 v7, 2, v3
	v_cmp_lt_u32_e64 s[0:1], v7, v5
	v_add_u32_e32 v7, 4, v3
	s_waitcnt lgkmcnt(0)
	v_add_f32_e32 v6, v4, v6
	v_cndmask_b32_e64 v4, v4, v6, s[0:1]
	v_cmp_gt_u32_e64 s[0:1], 60, v3
	v_cndmask_b32_e64 v6, 0, 1, s[0:1]
	v_lshlrev_b32_e32 v6, 2, v6
	v_add_lshl_u32 v6, v6, v1, 2
	ds_bpermute_b32 v6, v6, v4
	v_cmp_lt_u32_e64 s[0:1], v7, v5
	v_add_u32_e32 v7, 8, v3
	s_waitcnt lgkmcnt(0)
	v_add_f32_e32 v6, v4, v6
	v_cndmask_b32_e64 v4, v4, v6, s[0:1]
	v_cmp_gt_u32_e64 s[0:1], 56, v3
	v_cndmask_b32_e64 v6, 0, 1, s[0:1]
	v_lshlrev_b32_e32 v6, 3, v6
	v_add_lshl_u32 v6, v6, v1, 2
	ds_bpermute_b32 v6, v6, v4
	;; [unrolled: 10-line block ×3, first 2 shown]
	v_cmp_lt_u32_e64 s[0:1], v7, v5
	s_waitcnt lgkmcnt(0)
	v_add_f32_e32 v6, v4, v6
	v_cndmask_b32_e64 v4, v4, v6, s[0:1]
	v_cmp_gt_u32_e64 s[0:1], 32, v3
	v_cndmask_b32_e64 v6, 0, 1, s[0:1]
	v_lshlrev_b32_e32 v6, 5, v6
	v_add_lshl_u32 v6, v6, v1, 2
	ds_bpermute_b32 v6, v6, v4
	v_add_u32_e32 v3, 32, v3
	v_cmp_lt_u32_e64 s[0:1], v3, v5
	s_waitcnt lgkmcnt(0)
	v_add_f32_e32 v6, v4, v6
	v_cndmask_b32_e64 v3, v4, v6, s[0:1]
	v_cndmask_b32_e32 v2, v2, v3, vcc
	v_cmp_eq_u32_e32 vcc, 0, v1
	s_and_saveexec_b64 s[0:1], vcc
	s_cbranch_execz .LBB29_503
; %bb.502:
	v_lshrrev_b32_e32 v3, 4, v0
	v_and_b32_e32 v3, 4, v3
	ds_write_b32 v3, v2 offset:48
.LBB29_503:
	s_or_b64 exec, exec, s[0:1]
	v_cmp_gt_u32_e32 vcc, 2, v0
	s_waitcnt lgkmcnt(0)
	s_barrier
	s_and_saveexec_b64 s[0:1], vcc
	s_cbranch_execz .LBB29_505
; %bb.504:
	v_lshlrev_b32_e32 v2, 2, v1
	ds_read_b32 v3, v2 offset:48
	v_or_b32_e32 v2, 4, v2
	s_add_i32 s2, s2, 63
	v_and_b32_e32 v1, 1, v1
	s_lshr_b32 s2, s2, 6
	s_waitcnt lgkmcnt(0)
	ds_bpermute_b32 v2, v2, v3
	v_add_u32_e32 v1, 1, v1
	v_cmp_gt_u32_e32 vcc, s2, v1
	s_waitcnt lgkmcnt(0)
	v_add_f32_e32 v2, v3, v2
	v_cndmask_b32_e32 v2, v3, v2, vcc
.LBB29_505:
	s_or_b64 exec, exec, s[0:1]
.LBB29_506:
	v_cmp_eq_u32_e32 vcc, 0, v0
	s_and_saveexec_b64 s[0:1], vcc
	s_cbranch_execz .LBB29_508
; %bb.507:
	s_cmp_eq_u64 s[68:69], 0
	s_cselect_b64 vcc, -1, 0
	s_lshl_b64 s[0:1], s[6:7], 2
	v_add_f32_e32 v0, s33, v2
	v_mov_b32_e32 v1, s33
	s_add_u32 s0, s70, s0
	v_cndmask_b32_e32 v0, v0, v1, vcc
	s_addc_u32 s1, s71, s1
	v_mov_b32_e32 v1, 0
	global_store_dword v1, v0, s[0:1]
.LBB29_508:
	s_endpgm
	.section	.rodata,"a",@progbits
	.p2align	6, 0x0
	.amdhsa_kernel _ZN7rocprim17ROCPRIM_400000_NS6detail17trampoline_kernelINS0_14default_configENS1_22reduce_config_selectorIfEEZNS1_11reduce_implILb1ES3_N6thrust23THRUST_200600_302600_NS11hip_rocprim26transform_input_iterator_tIfNS8_17counting_iteratorIiNS8_11use_defaultESC_SC_EE11estimate_piEEPffNS8_4plusIfEEEE10hipError_tPvRmT1_T2_T3_mT4_P12ihipStream_tbEUlT_E1_NS1_11comp_targetILNS1_3genE4ELNS1_11target_archE910ELNS1_3gpuE8ELNS1_3repE0EEENS1_30default_config_static_selectorELNS0_4arch9wavefront6targetE1EEEvSM_
		.amdhsa_group_segment_fixed_size 56
		.amdhsa_private_segment_fixed_size 0
		.amdhsa_kernarg_size 40
		.amdhsa_user_sgpr_count 6
		.amdhsa_user_sgpr_private_segment_buffer 1
		.amdhsa_user_sgpr_dispatch_ptr 0
		.amdhsa_user_sgpr_queue_ptr 0
		.amdhsa_user_sgpr_kernarg_segment_ptr 1
		.amdhsa_user_sgpr_dispatch_id 0
		.amdhsa_user_sgpr_flat_scratch_init 0
		.amdhsa_user_sgpr_kernarg_preload_length 0
		.amdhsa_user_sgpr_kernarg_preload_offset 0
		.amdhsa_user_sgpr_private_segment_size 0
		.amdhsa_uses_dynamic_stack 0
		.amdhsa_system_sgpr_private_segment_wavefront_offset 0
		.amdhsa_system_sgpr_workgroup_id_x 1
		.amdhsa_system_sgpr_workgroup_id_y 0
		.amdhsa_system_sgpr_workgroup_id_z 0
		.amdhsa_system_sgpr_workgroup_info 0
		.amdhsa_system_vgpr_workitem_id 0
		.amdhsa_next_free_vgpr 44
		.amdhsa_next_free_sgpr 86
		.amdhsa_accum_offset 44
		.amdhsa_reserve_vcc 1
		.amdhsa_reserve_flat_scratch 0
		.amdhsa_float_round_mode_32 0
		.amdhsa_float_round_mode_16_64 0
		.amdhsa_float_denorm_mode_32 3
		.amdhsa_float_denorm_mode_16_64 3
		.amdhsa_dx10_clamp 1
		.amdhsa_ieee_mode 1
		.amdhsa_fp16_overflow 0
		.amdhsa_tg_split 0
		.amdhsa_exception_fp_ieee_invalid_op 0
		.amdhsa_exception_fp_denorm_src 0
		.amdhsa_exception_fp_ieee_div_zero 0
		.amdhsa_exception_fp_ieee_overflow 0
		.amdhsa_exception_fp_ieee_underflow 0
		.amdhsa_exception_fp_ieee_inexact 0
		.amdhsa_exception_int_div_zero 0
	.end_amdhsa_kernel
	.section	.text._ZN7rocprim17ROCPRIM_400000_NS6detail17trampoline_kernelINS0_14default_configENS1_22reduce_config_selectorIfEEZNS1_11reduce_implILb1ES3_N6thrust23THRUST_200600_302600_NS11hip_rocprim26transform_input_iterator_tIfNS8_17counting_iteratorIiNS8_11use_defaultESC_SC_EE11estimate_piEEPffNS8_4plusIfEEEE10hipError_tPvRmT1_T2_T3_mT4_P12ihipStream_tbEUlT_E1_NS1_11comp_targetILNS1_3genE4ELNS1_11target_archE910ELNS1_3gpuE8ELNS1_3repE0EEENS1_30default_config_static_selectorELNS0_4arch9wavefront6targetE1EEEvSM_,"axG",@progbits,_ZN7rocprim17ROCPRIM_400000_NS6detail17trampoline_kernelINS0_14default_configENS1_22reduce_config_selectorIfEEZNS1_11reduce_implILb1ES3_N6thrust23THRUST_200600_302600_NS11hip_rocprim26transform_input_iterator_tIfNS8_17counting_iteratorIiNS8_11use_defaultESC_SC_EE11estimate_piEEPffNS8_4plusIfEEEE10hipError_tPvRmT1_T2_T3_mT4_P12ihipStream_tbEUlT_E1_NS1_11comp_targetILNS1_3genE4ELNS1_11target_archE910ELNS1_3gpuE8ELNS1_3repE0EEENS1_30default_config_static_selectorELNS0_4arch9wavefront6targetE1EEEvSM_,comdat
.Lfunc_end29:
	.size	_ZN7rocprim17ROCPRIM_400000_NS6detail17trampoline_kernelINS0_14default_configENS1_22reduce_config_selectorIfEEZNS1_11reduce_implILb1ES3_N6thrust23THRUST_200600_302600_NS11hip_rocprim26transform_input_iterator_tIfNS8_17counting_iteratorIiNS8_11use_defaultESC_SC_EE11estimate_piEEPffNS8_4plusIfEEEE10hipError_tPvRmT1_T2_T3_mT4_P12ihipStream_tbEUlT_E1_NS1_11comp_targetILNS1_3genE4ELNS1_11target_archE910ELNS1_3gpuE8ELNS1_3repE0EEENS1_30default_config_static_selectorELNS0_4arch9wavefront6targetE1EEEvSM_, .Lfunc_end29-_ZN7rocprim17ROCPRIM_400000_NS6detail17trampoline_kernelINS0_14default_configENS1_22reduce_config_selectorIfEEZNS1_11reduce_implILb1ES3_N6thrust23THRUST_200600_302600_NS11hip_rocprim26transform_input_iterator_tIfNS8_17counting_iteratorIiNS8_11use_defaultESC_SC_EE11estimate_piEEPffNS8_4plusIfEEEE10hipError_tPvRmT1_T2_T3_mT4_P12ihipStream_tbEUlT_E1_NS1_11comp_targetILNS1_3genE4ELNS1_11target_archE910ELNS1_3gpuE8ELNS1_3repE0EEENS1_30default_config_static_selectorELNS0_4arch9wavefront6targetE1EEEvSM_
                                        ; -- End function
	.section	.AMDGPU.csdata,"",@progbits
; Kernel info:
; codeLenInByte = 114572
; NumSgprs: 90
; NumVgprs: 44
; NumAgprs: 0
; TotalNumVgprs: 44
; ScratchSize: 0
; MemoryBound: 0
; FloatMode: 240
; IeeeMode: 1
; LDSByteSize: 56 bytes/workgroup (compile time only)
; SGPRBlocks: 11
; VGPRBlocks: 5
; NumSGPRsForWavesPerEU: 90
; NumVGPRsForWavesPerEU: 44
; AccumOffset: 44
; Occupancy: 8
; WaveLimiterHint : 0
; COMPUTE_PGM_RSRC2:SCRATCH_EN: 0
; COMPUTE_PGM_RSRC2:USER_SGPR: 6
; COMPUTE_PGM_RSRC2:TRAP_HANDLER: 0
; COMPUTE_PGM_RSRC2:TGID_X_EN: 1
; COMPUTE_PGM_RSRC2:TGID_Y_EN: 0
; COMPUTE_PGM_RSRC2:TGID_Z_EN: 0
; COMPUTE_PGM_RSRC2:TIDIG_COMP_CNT: 0
; COMPUTE_PGM_RSRC3_GFX90A:ACCUM_OFFSET: 10
; COMPUTE_PGM_RSRC3_GFX90A:TG_SPLIT: 0
	.section	.text._ZN7rocprim17ROCPRIM_400000_NS6detail17trampoline_kernelINS0_14default_configENS1_22reduce_config_selectorIfEEZNS1_11reduce_implILb1ES3_N6thrust23THRUST_200600_302600_NS11hip_rocprim26transform_input_iterator_tIfNS8_17counting_iteratorIiNS8_11use_defaultESC_SC_EE11estimate_piEEPffNS8_4plusIfEEEE10hipError_tPvRmT1_T2_T3_mT4_P12ihipStream_tbEUlT_E1_NS1_11comp_targetILNS1_3genE3ELNS1_11target_archE908ELNS1_3gpuE7ELNS1_3repE0EEENS1_30default_config_static_selectorELNS0_4arch9wavefront6targetE1EEEvSM_,"axG",@progbits,_ZN7rocprim17ROCPRIM_400000_NS6detail17trampoline_kernelINS0_14default_configENS1_22reduce_config_selectorIfEEZNS1_11reduce_implILb1ES3_N6thrust23THRUST_200600_302600_NS11hip_rocprim26transform_input_iterator_tIfNS8_17counting_iteratorIiNS8_11use_defaultESC_SC_EE11estimate_piEEPffNS8_4plusIfEEEE10hipError_tPvRmT1_T2_T3_mT4_P12ihipStream_tbEUlT_E1_NS1_11comp_targetILNS1_3genE3ELNS1_11target_archE908ELNS1_3gpuE7ELNS1_3repE0EEENS1_30default_config_static_selectorELNS0_4arch9wavefront6targetE1EEEvSM_,comdat
	.protected	_ZN7rocprim17ROCPRIM_400000_NS6detail17trampoline_kernelINS0_14default_configENS1_22reduce_config_selectorIfEEZNS1_11reduce_implILb1ES3_N6thrust23THRUST_200600_302600_NS11hip_rocprim26transform_input_iterator_tIfNS8_17counting_iteratorIiNS8_11use_defaultESC_SC_EE11estimate_piEEPffNS8_4plusIfEEEE10hipError_tPvRmT1_T2_T3_mT4_P12ihipStream_tbEUlT_E1_NS1_11comp_targetILNS1_3genE3ELNS1_11target_archE908ELNS1_3gpuE7ELNS1_3repE0EEENS1_30default_config_static_selectorELNS0_4arch9wavefront6targetE1EEEvSM_ ; -- Begin function _ZN7rocprim17ROCPRIM_400000_NS6detail17trampoline_kernelINS0_14default_configENS1_22reduce_config_selectorIfEEZNS1_11reduce_implILb1ES3_N6thrust23THRUST_200600_302600_NS11hip_rocprim26transform_input_iterator_tIfNS8_17counting_iteratorIiNS8_11use_defaultESC_SC_EE11estimate_piEEPffNS8_4plusIfEEEE10hipError_tPvRmT1_T2_T3_mT4_P12ihipStream_tbEUlT_E1_NS1_11comp_targetILNS1_3genE3ELNS1_11target_archE908ELNS1_3gpuE7ELNS1_3repE0EEENS1_30default_config_static_selectorELNS0_4arch9wavefront6targetE1EEEvSM_
	.globl	_ZN7rocprim17ROCPRIM_400000_NS6detail17trampoline_kernelINS0_14default_configENS1_22reduce_config_selectorIfEEZNS1_11reduce_implILb1ES3_N6thrust23THRUST_200600_302600_NS11hip_rocprim26transform_input_iterator_tIfNS8_17counting_iteratorIiNS8_11use_defaultESC_SC_EE11estimate_piEEPffNS8_4plusIfEEEE10hipError_tPvRmT1_T2_T3_mT4_P12ihipStream_tbEUlT_E1_NS1_11comp_targetILNS1_3genE3ELNS1_11target_archE908ELNS1_3gpuE7ELNS1_3repE0EEENS1_30default_config_static_selectorELNS0_4arch9wavefront6targetE1EEEvSM_
	.p2align	8
	.type	_ZN7rocprim17ROCPRIM_400000_NS6detail17trampoline_kernelINS0_14default_configENS1_22reduce_config_selectorIfEEZNS1_11reduce_implILb1ES3_N6thrust23THRUST_200600_302600_NS11hip_rocprim26transform_input_iterator_tIfNS8_17counting_iteratorIiNS8_11use_defaultESC_SC_EE11estimate_piEEPffNS8_4plusIfEEEE10hipError_tPvRmT1_T2_T3_mT4_P12ihipStream_tbEUlT_E1_NS1_11comp_targetILNS1_3genE3ELNS1_11target_archE908ELNS1_3gpuE7ELNS1_3repE0EEENS1_30default_config_static_selectorELNS0_4arch9wavefront6targetE1EEEvSM_,@function
_ZN7rocprim17ROCPRIM_400000_NS6detail17trampoline_kernelINS0_14default_configENS1_22reduce_config_selectorIfEEZNS1_11reduce_implILb1ES3_N6thrust23THRUST_200600_302600_NS11hip_rocprim26transform_input_iterator_tIfNS8_17counting_iteratorIiNS8_11use_defaultESC_SC_EE11estimate_piEEPffNS8_4plusIfEEEE10hipError_tPvRmT1_T2_T3_mT4_P12ihipStream_tbEUlT_E1_NS1_11comp_targetILNS1_3genE3ELNS1_11target_archE908ELNS1_3gpuE7ELNS1_3repE0EEENS1_30default_config_static_selectorELNS0_4arch9wavefront6targetE1EEEvSM_: ; @_ZN7rocprim17ROCPRIM_400000_NS6detail17trampoline_kernelINS0_14default_configENS1_22reduce_config_selectorIfEEZNS1_11reduce_implILb1ES3_N6thrust23THRUST_200600_302600_NS11hip_rocprim26transform_input_iterator_tIfNS8_17counting_iteratorIiNS8_11use_defaultESC_SC_EE11estimate_piEEPffNS8_4plusIfEEEE10hipError_tPvRmT1_T2_T3_mT4_P12ihipStream_tbEUlT_E1_NS1_11comp_targetILNS1_3genE3ELNS1_11target_archE908ELNS1_3gpuE7ELNS1_3repE0EEENS1_30default_config_static_selectorELNS0_4arch9wavefront6targetE1EEEvSM_
; %bb.0:
	.section	.rodata,"a",@progbits
	.p2align	6, 0x0
	.amdhsa_kernel _ZN7rocprim17ROCPRIM_400000_NS6detail17trampoline_kernelINS0_14default_configENS1_22reduce_config_selectorIfEEZNS1_11reduce_implILb1ES3_N6thrust23THRUST_200600_302600_NS11hip_rocprim26transform_input_iterator_tIfNS8_17counting_iteratorIiNS8_11use_defaultESC_SC_EE11estimate_piEEPffNS8_4plusIfEEEE10hipError_tPvRmT1_T2_T3_mT4_P12ihipStream_tbEUlT_E1_NS1_11comp_targetILNS1_3genE3ELNS1_11target_archE908ELNS1_3gpuE7ELNS1_3repE0EEENS1_30default_config_static_selectorELNS0_4arch9wavefront6targetE1EEEvSM_
		.amdhsa_group_segment_fixed_size 0
		.amdhsa_private_segment_fixed_size 0
		.amdhsa_kernarg_size 40
		.amdhsa_user_sgpr_count 6
		.amdhsa_user_sgpr_private_segment_buffer 1
		.amdhsa_user_sgpr_dispatch_ptr 0
		.amdhsa_user_sgpr_queue_ptr 0
		.amdhsa_user_sgpr_kernarg_segment_ptr 1
		.amdhsa_user_sgpr_dispatch_id 0
		.amdhsa_user_sgpr_flat_scratch_init 0
		.amdhsa_user_sgpr_kernarg_preload_length 0
		.amdhsa_user_sgpr_kernarg_preload_offset 0
		.amdhsa_user_sgpr_private_segment_size 0
		.amdhsa_uses_dynamic_stack 0
		.amdhsa_system_sgpr_private_segment_wavefront_offset 0
		.amdhsa_system_sgpr_workgroup_id_x 1
		.amdhsa_system_sgpr_workgroup_id_y 0
		.amdhsa_system_sgpr_workgroup_id_z 0
		.amdhsa_system_sgpr_workgroup_info 0
		.amdhsa_system_vgpr_workitem_id 0
		.amdhsa_next_free_vgpr 1
		.amdhsa_next_free_sgpr 0
		.amdhsa_accum_offset 4
		.amdhsa_reserve_vcc 0
		.amdhsa_reserve_flat_scratch 0
		.amdhsa_float_round_mode_32 0
		.amdhsa_float_round_mode_16_64 0
		.amdhsa_float_denorm_mode_32 3
		.amdhsa_float_denorm_mode_16_64 3
		.amdhsa_dx10_clamp 1
		.amdhsa_ieee_mode 1
		.amdhsa_fp16_overflow 0
		.amdhsa_tg_split 0
		.amdhsa_exception_fp_ieee_invalid_op 0
		.amdhsa_exception_fp_denorm_src 0
		.amdhsa_exception_fp_ieee_div_zero 0
		.amdhsa_exception_fp_ieee_overflow 0
		.amdhsa_exception_fp_ieee_underflow 0
		.amdhsa_exception_fp_ieee_inexact 0
		.amdhsa_exception_int_div_zero 0
	.end_amdhsa_kernel
	.section	.text._ZN7rocprim17ROCPRIM_400000_NS6detail17trampoline_kernelINS0_14default_configENS1_22reduce_config_selectorIfEEZNS1_11reduce_implILb1ES3_N6thrust23THRUST_200600_302600_NS11hip_rocprim26transform_input_iterator_tIfNS8_17counting_iteratorIiNS8_11use_defaultESC_SC_EE11estimate_piEEPffNS8_4plusIfEEEE10hipError_tPvRmT1_T2_T3_mT4_P12ihipStream_tbEUlT_E1_NS1_11comp_targetILNS1_3genE3ELNS1_11target_archE908ELNS1_3gpuE7ELNS1_3repE0EEENS1_30default_config_static_selectorELNS0_4arch9wavefront6targetE1EEEvSM_,"axG",@progbits,_ZN7rocprim17ROCPRIM_400000_NS6detail17trampoline_kernelINS0_14default_configENS1_22reduce_config_selectorIfEEZNS1_11reduce_implILb1ES3_N6thrust23THRUST_200600_302600_NS11hip_rocprim26transform_input_iterator_tIfNS8_17counting_iteratorIiNS8_11use_defaultESC_SC_EE11estimate_piEEPffNS8_4plusIfEEEE10hipError_tPvRmT1_T2_T3_mT4_P12ihipStream_tbEUlT_E1_NS1_11comp_targetILNS1_3genE3ELNS1_11target_archE908ELNS1_3gpuE7ELNS1_3repE0EEENS1_30default_config_static_selectorELNS0_4arch9wavefront6targetE1EEEvSM_,comdat
.Lfunc_end30:
	.size	_ZN7rocprim17ROCPRIM_400000_NS6detail17trampoline_kernelINS0_14default_configENS1_22reduce_config_selectorIfEEZNS1_11reduce_implILb1ES3_N6thrust23THRUST_200600_302600_NS11hip_rocprim26transform_input_iterator_tIfNS8_17counting_iteratorIiNS8_11use_defaultESC_SC_EE11estimate_piEEPffNS8_4plusIfEEEE10hipError_tPvRmT1_T2_T3_mT4_P12ihipStream_tbEUlT_E1_NS1_11comp_targetILNS1_3genE3ELNS1_11target_archE908ELNS1_3gpuE7ELNS1_3repE0EEENS1_30default_config_static_selectorELNS0_4arch9wavefront6targetE1EEEvSM_, .Lfunc_end30-_ZN7rocprim17ROCPRIM_400000_NS6detail17trampoline_kernelINS0_14default_configENS1_22reduce_config_selectorIfEEZNS1_11reduce_implILb1ES3_N6thrust23THRUST_200600_302600_NS11hip_rocprim26transform_input_iterator_tIfNS8_17counting_iteratorIiNS8_11use_defaultESC_SC_EE11estimate_piEEPffNS8_4plusIfEEEE10hipError_tPvRmT1_T2_T3_mT4_P12ihipStream_tbEUlT_E1_NS1_11comp_targetILNS1_3genE3ELNS1_11target_archE908ELNS1_3gpuE7ELNS1_3repE0EEENS1_30default_config_static_selectorELNS0_4arch9wavefront6targetE1EEEvSM_
                                        ; -- End function
	.section	.AMDGPU.csdata,"",@progbits
; Kernel info:
; codeLenInByte = 0
; NumSgprs: 4
; NumVgprs: 0
; NumAgprs: 0
; TotalNumVgprs: 0
; ScratchSize: 0
; MemoryBound: 0
; FloatMode: 240
; IeeeMode: 1
; LDSByteSize: 0 bytes/workgroup (compile time only)
; SGPRBlocks: 0
; VGPRBlocks: 0
; NumSGPRsForWavesPerEU: 4
; NumVGPRsForWavesPerEU: 1
; AccumOffset: 4
; Occupancy: 8
; WaveLimiterHint : 0
; COMPUTE_PGM_RSRC2:SCRATCH_EN: 0
; COMPUTE_PGM_RSRC2:USER_SGPR: 6
; COMPUTE_PGM_RSRC2:TRAP_HANDLER: 0
; COMPUTE_PGM_RSRC2:TGID_X_EN: 1
; COMPUTE_PGM_RSRC2:TGID_Y_EN: 0
; COMPUTE_PGM_RSRC2:TGID_Z_EN: 0
; COMPUTE_PGM_RSRC2:TIDIG_COMP_CNT: 0
; COMPUTE_PGM_RSRC3_GFX90A:ACCUM_OFFSET: 0
; COMPUTE_PGM_RSRC3_GFX90A:TG_SPLIT: 0
	.section	.text._ZN7rocprim17ROCPRIM_400000_NS6detail17trampoline_kernelINS0_14default_configENS1_22reduce_config_selectorIfEEZNS1_11reduce_implILb1ES3_N6thrust23THRUST_200600_302600_NS11hip_rocprim26transform_input_iterator_tIfNS8_17counting_iteratorIiNS8_11use_defaultESC_SC_EE11estimate_piEEPffNS8_4plusIfEEEE10hipError_tPvRmT1_T2_T3_mT4_P12ihipStream_tbEUlT_E1_NS1_11comp_targetILNS1_3genE2ELNS1_11target_archE906ELNS1_3gpuE6ELNS1_3repE0EEENS1_30default_config_static_selectorELNS0_4arch9wavefront6targetE1EEEvSM_,"axG",@progbits,_ZN7rocprim17ROCPRIM_400000_NS6detail17trampoline_kernelINS0_14default_configENS1_22reduce_config_selectorIfEEZNS1_11reduce_implILb1ES3_N6thrust23THRUST_200600_302600_NS11hip_rocprim26transform_input_iterator_tIfNS8_17counting_iteratorIiNS8_11use_defaultESC_SC_EE11estimate_piEEPffNS8_4plusIfEEEE10hipError_tPvRmT1_T2_T3_mT4_P12ihipStream_tbEUlT_E1_NS1_11comp_targetILNS1_3genE2ELNS1_11target_archE906ELNS1_3gpuE6ELNS1_3repE0EEENS1_30default_config_static_selectorELNS0_4arch9wavefront6targetE1EEEvSM_,comdat
	.protected	_ZN7rocprim17ROCPRIM_400000_NS6detail17trampoline_kernelINS0_14default_configENS1_22reduce_config_selectorIfEEZNS1_11reduce_implILb1ES3_N6thrust23THRUST_200600_302600_NS11hip_rocprim26transform_input_iterator_tIfNS8_17counting_iteratorIiNS8_11use_defaultESC_SC_EE11estimate_piEEPffNS8_4plusIfEEEE10hipError_tPvRmT1_T2_T3_mT4_P12ihipStream_tbEUlT_E1_NS1_11comp_targetILNS1_3genE2ELNS1_11target_archE906ELNS1_3gpuE6ELNS1_3repE0EEENS1_30default_config_static_selectorELNS0_4arch9wavefront6targetE1EEEvSM_ ; -- Begin function _ZN7rocprim17ROCPRIM_400000_NS6detail17trampoline_kernelINS0_14default_configENS1_22reduce_config_selectorIfEEZNS1_11reduce_implILb1ES3_N6thrust23THRUST_200600_302600_NS11hip_rocprim26transform_input_iterator_tIfNS8_17counting_iteratorIiNS8_11use_defaultESC_SC_EE11estimate_piEEPffNS8_4plusIfEEEE10hipError_tPvRmT1_T2_T3_mT4_P12ihipStream_tbEUlT_E1_NS1_11comp_targetILNS1_3genE2ELNS1_11target_archE906ELNS1_3gpuE6ELNS1_3repE0EEENS1_30default_config_static_selectorELNS0_4arch9wavefront6targetE1EEEvSM_
	.globl	_ZN7rocprim17ROCPRIM_400000_NS6detail17trampoline_kernelINS0_14default_configENS1_22reduce_config_selectorIfEEZNS1_11reduce_implILb1ES3_N6thrust23THRUST_200600_302600_NS11hip_rocprim26transform_input_iterator_tIfNS8_17counting_iteratorIiNS8_11use_defaultESC_SC_EE11estimate_piEEPffNS8_4plusIfEEEE10hipError_tPvRmT1_T2_T3_mT4_P12ihipStream_tbEUlT_E1_NS1_11comp_targetILNS1_3genE2ELNS1_11target_archE906ELNS1_3gpuE6ELNS1_3repE0EEENS1_30default_config_static_selectorELNS0_4arch9wavefront6targetE1EEEvSM_
	.p2align	8
	.type	_ZN7rocprim17ROCPRIM_400000_NS6detail17trampoline_kernelINS0_14default_configENS1_22reduce_config_selectorIfEEZNS1_11reduce_implILb1ES3_N6thrust23THRUST_200600_302600_NS11hip_rocprim26transform_input_iterator_tIfNS8_17counting_iteratorIiNS8_11use_defaultESC_SC_EE11estimate_piEEPffNS8_4plusIfEEEE10hipError_tPvRmT1_T2_T3_mT4_P12ihipStream_tbEUlT_E1_NS1_11comp_targetILNS1_3genE2ELNS1_11target_archE906ELNS1_3gpuE6ELNS1_3repE0EEENS1_30default_config_static_selectorELNS0_4arch9wavefront6targetE1EEEvSM_,@function
_ZN7rocprim17ROCPRIM_400000_NS6detail17trampoline_kernelINS0_14default_configENS1_22reduce_config_selectorIfEEZNS1_11reduce_implILb1ES3_N6thrust23THRUST_200600_302600_NS11hip_rocprim26transform_input_iterator_tIfNS8_17counting_iteratorIiNS8_11use_defaultESC_SC_EE11estimate_piEEPffNS8_4plusIfEEEE10hipError_tPvRmT1_T2_T3_mT4_P12ihipStream_tbEUlT_E1_NS1_11comp_targetILNS1_3genE2ELNS1_11target_archE906ELNS1_3gpuE6ELNS1_3repE0EEENS1_30default_config_static_selectorELNS0_4arch9wavefront6targetE1EEEvSM_: ; @_ZN7rocprim17ROCPRIM_400000_NS6detail17trampoline_kernelINS0_14default_configENS1_22reduce_config_selectorIfEEZNS1_11reduce_implILb1ES3_N6thrust23THRUST_200600_302600_NS11hip_rocprim26transform_input_iterator_tIfNS8_17counting_iteratorIiNS8_11use_defaultESC_SC_EE11estimate_piEEPffNS8_4plusIfEEEE10hipError_tPvRmT1_T2_T3_mT4_P12ihipStream_tbEUlT_E1_NS1_11comp_targetILNS1_3genE2ELNS1_11target_archE906ELNS1_3gpuE6ELNS1_3repE0EEENS1_30default_config_static_selectorELNS0_4arch9wavefront6targetE1EEEvSM_
; %bb.0:
	.section	.rodata,"a",@progbits
	.p2align	6, 0x0
	.amdhsa_kernel _ZN7rocprim17ROCPRIM_400000_NS6detail17trampoline_kernelINS0_14default_configENS1_22reduce_config_selectorIfEEZNS1_11reduce_implILb1ES3_N6thrust23THRUST_200600_302600_NS11hip_rocprim26transform_input_iterator_tIfNS8_17counting_iteratorIiNS8_11use_defaultESC_SC_EE11estimate_piEEPffNS8_4plusIfEEEE10hipError_tPvRmT1_T2_T3_mT4_P12ihipStream_tbEUlT_E1_NS1_11comp_targetILNS1_3genE2ELNS1_11target_archE906ELNS1_3gpuE6ELNS1_3repE0EEENS1_30default_config_static_selectorELNS0_4arch9wavefront6targetE1EEEvSM_
		.amdhsa_group_segment_fixed_size 0
		.amdhsa_private_segment_fixed_size 0
		.amdhsa_kernarg_size 40
		.amdhsa_user_sgpr_count 6
		.amdhsa_user_sgpr_private_segment_buffer 1
		.amdhsa_user_sgpr_dispatch_ptr 0
		.amdhsa_user_sgpr_queue_ptr 0
		.amdhsa_user_sgpr_kernarg_segment_ptr 1
		.amdhsa_user_sgpr_dispatch_id 0
		.amdhsa_user_sgpr_flat_scratch_init 0
		.amdhsa_user_sgpr_kernarg_preload_length 0
		.amdhsa_user_sgpr_kernarg_preload_offset 0
		.amdhsa_user_sgpr_private_segment_size 0
		.amdhsa_uses_dynamic_stack 0
		.amdhsa_system_sgpr_private_segment_wavefront_offset 0
		.amdhsa_system_sgpr_workgroup_id_x 1
		.amdhsa_system_sgpr_workgroup_id_y 0
		.amdhsa_system_sgpr_workgroup_id_z 0
		.amdhsa_system_sgpr_workgroup_info 0
		.amdhsa_system_vgpr_workitem_id 0
		.amdhsa_next_free_vgpr 1
		.amdhsa_next_free_sgpr 0
		.amdhsa_accum_offset 4
		.amdhsa_reserve_vcc 0
		.amdhsa_reserve_flat_scratch 0
		.amdhsa_float_round_mode_32 0
		.amdhsa_float_round_mode_16_64 0
		.amdhsa_float_denorm_mode_32 3
		.amdhsa_float_denorm_mode_16_64 3
		.amdhsa_dx10_clamp 1
		.amdhsa_ieee_mode 1
		.amdhsa_fp16_overflow 0
		.amdhsa_tg_split 0
		.amdhsa_exception_fp_ieee_invalid_op 0
		.amdhsa_exception_fp_denorm_src 0
		.amdhsa_exception_fp_ieee_div_zero 0
		.amdhsa_exception_fp_ieee_overflow 0
		.amdhsa_exception_fp_ieee_underflow 0
		.amdhsa_exception_fp_ieee_inexact 0
		.amdhsa_exception_int_div_zero 0
	.end_amdhsa_kernel
	.section	.text._ZN7rocprim17ROCPRIM_400000_NS6detail17trampoline_kernelINS0_14default_configENS1_22reduce_config_selectorIfEEZNS1_11reduce_implILb1ES3_N6thrust23THRUST_200600_302600_NS11hip_rocprim26transform_input_iterator_tIfNS8_17counting_iteratorIiNS8_11use_defaultESC_SC_EE11estimate_piEEPffNS8_4plusIfEEEE10hipError_tPvRmT1_T2_T3_mT4_P12ihipStream_tbEUlT_E1_NS1_11comp_targetILNS1_3genE2ELNS1_11target_archE906ELNS1_3gpuE6ELNS1_3repE0EEENS1_30default_config_static_selectorELNS0_4arch9wavefront6targetE1EEEvSM_,"axG",@progbits,_ZN7rocprim17ROCPRIM_400000_NS6detail17trampoline_kernelINS0_14default_configENS1_22reduce_config_selectorIfEEZNS1_11reduce_implILb1ES3_N6thrust23THRUST_200600_302600_NS11hip_rocprim26transform_input_iterator_tIfNS8_17counting_iteratorIiNS8_11use_defaultESC_SC_EE11estimate_piEEPffNS8_4plusIfEEEE10hipError_tPvRmT1_T2_T3_mT4_P12ihipStream_tbEUlT_E1_NS1_11comp_targetILNS1_3genE2ELNS1_11target_archE906ELNS1_3gpuE6ELNS1_3repE0EEENS1_30default_config_static_selectorELNS0_4arch9wavefront6targetE1EEEvSM_,comdat
.Lfunc_end31:
	.size	_ZN7rocprim17ROCPRIM_400000_NS6detail17trampoline_kernelINS0_14default_configENS1_22reduce_config_selectorIfEEZNS1_11reduce_implILb1ES3_N6thrust23THRUST_200600_302600_NS11hip_rocprim26transform_input_iterator_tIfNS8_17counting_iteratorIiNS8_11use_defaultESC_SC_EE11estimate_piEEPffNS8_4plusIfEEEE10hipError_tPvRmT1_T2_T3_mT4_P12ihipStream_tbEUlT_E1_NS1_11comp_targetILNS1_3genE2ELNS1_11target_archE906ELNS1_3gpuE6ELNS1_3repE0EEENS1_30default_config_static_selectorELNS0_4arch9wavefront6targetE1EEEvSM_, .Lfunc_end31-_ZN7rocprim17ROCPRIM_400000_NS6detail17trampoline_kernelINS0_14default_configENS1_22reduce_config_selectorIfEEZNS1_11reduce_implILb1ES3_N6thrust23THRUST_200600_302600_NS11hip_rocprim26transform_input_iterator_tIfNS8_17counting_iteratorIiNS8_11use_defaultESC_SC_EE11estimate_piEEPffNS8_4plusIfEEEE10hipError_tPvRmT1_T2_T3_mT4_P12ihipStream_tbEUlT_E1_NS1_11comp_targetILNS1_3genE2ELNS1_11target_archE906ELNS1_3gpuE6ELNS1_3repE0EEENS1_30default_config_static_selectorELNS0_4arch9wavefront6targetE1EEEvSM_
                                        ; -- End function
	.section	.AMDGPU.csdata,"",@progbits
; Kernel info:
; codeLenInByte = 0
; NumSgprs: 4
; NumVgprs: 0
; NumAgprs: 0
; TotalNumVgprs: 0
; ScratchSize: 0
; MemoryBound: 0
; FloatMode: 240
; IeeeMode: 1
; LDSByteSize: 0 bytes/workgroup (compile time only)
; SGPRBlocks: 0
; VGPRBlocks: 0
; NumSGPRsForWavesPerEU: 4
; NumVGPRsForWavesPerEU: 1
; AccumOffset: 4
; Occupancy: 8
; WaveLimiterHint : 0
; COMPUTE_PGM_RSRC2:SCRATCH_EN: 0
; COMPUTE_PGM_RSRC2:USER_SGPR: 6
; COMPUTE_PGM_RSRC2:TRAP_HANDLER: 0
; COMPUTE_PGM_RSRC2:TGID_X_EN: 1
; COMPUTE_PGM_RSRC2:TGID_Y_EN: 0
; COMPUTE_PGM_RSRC2:TGID_Z_EN: 0
; COMPUTE_PGM_RSRC2:TIDIG_COMP_CNT: 0
; COMPUTE_PGM_RSRC3_GFX90A:ACCUM_OFFSET: 0
; COMPUTE_PGM_RSRC3_GFX90A:TG_SPLIT: 0
	.section	.text._ZN7rocprim17ROCPRIM_400000_NS6detail17trampoline_kernelINS0_14default_configENS1_22reduce_config_selectorIfEEZNS1_11reduce_implILb1ES3_N6thrust23THRUST_200600_302600_NS11hip_rocprim26transform_input_iterator_tIfNS8_17counting_iteratorIiNS8_11use_defaultESC_SC_EE11estimate_piEEPffNS8_4plusIfEEEE10hipError_tPvRmT1_T2_T3_mT4_P12ihipStream_tbEUlT_E1_NS1_11comp_targetILNS1_3genE10ELNS1_11target_archE1201ELNS1_3gpuE5ELNS1_3repE0EEENS1_30default_config_static_selectorELNS0_4arch9wavefront6targetE1EEEvSM_,"axG",@progbits,_ZN7rocprim17ROCPRIM_400000_NS6detail17trampoline_kernelINS0_14default_configENS1_22reduce_config_selectorIfEEZNS1_11reduce_implILb1ES3_N6thrust23THRUST_200600_302600_NS11hip_rocprim26transform_input_iterator_tIfNS8_17counting_iteratorIiNS8_11use_defaultESC_SC_EE11estimate_piEEPffNS8_4plusIfEEEE10hipError_tPvRmT1_T2_T3_mT4_P12ihipStream_tbEUlT_E1_NS1_11comp_targetILNS1_3genE10ELNS1_11target_archE1201ELNS1_3gpuE5ELNS1_3repE0EEENS1_30default_config_static_selectorELNS0_4arch9wavefront6targetE1EEEvSM_,comdat
	.protected	_ZN7rocprim17ROCPRIM_400000_NS6detail17trampoline_kernelINS0_14default_configENS1_22reduce_config_selectorIfEEZNS1_11reduce_implILb1ES3_N6thrust23THRUST_200600_302600_NS11hip_rocprim26transform_input_iterator_tIfNS8_17counting_iteratorIiNS8_11use_defaultESC_SC_EE11estimate_piEEPffNS8_4plusIfEEEE10hipError_tPvRmT1_T2_T3_mT4_P12ihipStream_tbEUlT_E1_NS1_11comp_targetILNS1_3genE10ELNS1_11target_archE1201ELNS1_3gpuE5ELNS1_3repE0EEENS1_30default_config_static_selectorELNS0_4arch9wavefront6targetE1EEEvSM_ ; -- Begin function _ZN7rocprim17ROCPRIM_400000_NS6detail17trampoline_kernelINS0_14default_configENS1_22reduce_config_selectorIfEEZNS1_11reduce_implILb1ES3_N6thrust23THRUST_200600_302600_NS11hip_rocprim26transform_input_iterator_tIfNS8_17counting_iteratorIiNS8_11use_defaultESC_SC_EE11estimate_piEEPffNS8_4plusIfEEEE10hipError_tPvRmT1_T2_T3_mT4_P12ihipStream_tbEUlT_E1_NS1_11comp_targetILNS1_3genE10ELNS1_11target_archE1201ELNS1_3gpuE5ELNS1_3repE0EEENS1_30default_config_static_selectorELNS0_4arch9wavefront6targetE1EEEvSM_
	.globl	_ZN7rocprim17ROCPRIM_400000_NS6detail17trampoline_kernelINS0_14default_configENS1_22reduce_config_selectorIfEEZNS1_11reduce_implILb1ES3_N6thrust23THRUST_200600_302600_NS11hip_rocprim26transform_input_iterator_tIfNS8_17counting_iteratorIiNS8_11use_defaultESC_SC_EE11estimate_piEEPffNS8_4plusIfEEEE10hipError_tPvRmT1_T2_T3_mT4_P12ihipStream_tbEUlT_E1_NS1_11comp_targetILNS1_3genE10ELNS1_11target_archE1201ELNS1_3gpuE5ELNS1_3repE0EEENS1_30default_config_static_selectorELNS0_4arch9wavefront6targetE1EEEvSM_
	.p2align	8
	.type	_ZN7rocprim17ROCPRIM_400000_NS6detail17trampoline_kernelINS0_14default_configENS1_22reduce_config_selectorIfEEZNS1_11reduce_implILb1ES3_N6thrust23THRUST_200600_302600_NS11hip_rocprim26transform_input_iterator_tIfNS8_17counting_iteratorIiNS8_11use_defaultESC_SC_EE11estimate_piEEPffNS8_4plusIfEEEE10hipError_tPvRmT1_T2_T3_mT4_P12ihipStream_tbEUlT_E1_NS1_11comp_targetILNS1_3genE10ELNS1_11target_archE1201ELNS1_3gpuE5ELNS1_3repE0EEENS1_30default_config_static_selectorELNS0_4arch9wavefront6targetE1EEEvSM_,@function
_ZN7rocprim17ROCPRIM_400000_NS6detail17trampoline_kernelINS0_14default_configENS1_22reduce_config_selectorIfEEZNS1_11reduce_implILb1ES3_N6thrust23THRUST_200600_302600_NS11hip_rocprim26transform_input_iterator_tIfNS8_17counting_iteratorIiNS8_11use_defaultESC_SC_EE11estimate_piEEPffNS8_4plusIfEEEE10hipError_tPvRmT1_T2_T3_mT4_P12ihipStream_tbEUlT_E1_NS1_11comp_targetILNS1_3genE10ELNS1_11target_archE1201ELNS1_3gpuE5ELNS1_3repE0EEENS1_30default_config_static_selectorELNS0_4arch9wavefront6targetE1EEEvSM_: ; @_ZN7rocprim17ROCPRIM_400000_NS6detail17trampoline_kernelINS0_14default_configENS1_22reduce_config_selectorIfEEZNS1_11reduce_implILb1ES3_N6thrust23THRUST_200600_302600_NS11hip_rocprim26transform_input_iterator_tIfNS8_17counting_iteratorIiNS8_11use_defaultESC_SC_EE11estimate_piEEPffNS8_4plusIfEEEE10hipError_tPvRmT1_T2_T3_mT4_P12ihipStream_tbEUlT_E1_NS1_11comp_targetILNS1_3genE10ELNS1_11target_archE1201ELNS1_3gpuE5ELNS1_3repE0EEENS1_30default_config_static_selectorELNS0_4arch9wavefront6targetE1EEEvSM_
; %bb.0:
	.section	.rodata,"a",@progbits
	.p2align	6, 0x0
	.amdhsa_kernel _ZN7rocprim17ROCPRIM_400000_NS6detail17trampoline_kernelINS0_14default_configENS1_22reduce_config_selectorIfEEZNS1_11reduce_implILb1ES3_N6thrust23THRUST_200600_302600_NS11hip_rocprim26transform_input_iterator_tIfNS8_17counting_iteratorIiNS8_11use_defaultESC_SC_EE11estimate_piEEPffNS8_4plusIfEEEE10hipError_tPvRmT1_T2_T3_mT4_P12ihipStream_tbEUlT_E1_NS1_11comp_targetILNS1_3genE10ELNS1_11target_archE1201ELNS1_3gpuE5ELNS1_3repE0EEENS1_30default_config_static_selectorELNS0_4arch9wavefront6targetE1EEEvSM_
		.amdhsa_group_segment_fixed_size 0
		.amdhsa_private_segment_fixed_size 0
		.amdhsa_kernarg_size 40
		.amdhsa_user_sgpr_count 6
		.amdhsa_user_sgpr_private_segment_buffer 1
		.amdhsa_user_sgpr_dispatch_ptr 0
		.amdhsa_user_sgpr_queue_ptr 0
		.amdhsa_user_sgpr_kernarg_segment_ptr 1
		.amdhsa_user_sgpr_dispatch_id 0
		.amdhsa_user_sgpr_flat_scratch_init 0
		.amdhsa_user_sgpr_kernarg_preload_length 0
		.amdhsa_user_sgpr_kernarg_preload_offset 0
		.amdhsa_user_sgpr_private_segment_size 0
		.amdhsa_uses_dynamic_stack 0
		.amdhsa_system_sgpr_private_segment_wavefront_offset 0
		.amdhsa_system_sgpr_workgroup_id_x 1
		.amdhsa_system_sgpr_workgroup_id_y 0
		.amdhsa_system_sgpr_workgroup_id_z 0
		.amdhsa_system_sgpr_workgroup_info 0
		.amdhsa_system_vgpr_workitem_id 0
		.amdhsa_next_free_vgpr 1
		.amdhsa_next_free_sgpr 0
		.amdhsa_accum_offset 4
		.amdhsa_reserve_vcc 0
		.amdhsa_reserve_flat_scratch 0
		.amdhsa_float_round_mode_32 0
		.amdhsa_float_round_mode_16_64 0
		.amdhsa_float_denorm_mode_32 3
		.amdhsa_float_denorm_mode_16_64 3
		.amdhsa_dx10_clamp 1
		.amdhsa_ieee_mode 1
		.amdhsa_fp16_overflow 0
		.amdhsa_tg_split 0
		.amdhsa_exception_fp_ieee_invalid_op 0
		.amdhsa_exception_fp_denorm_src 0
		.amdhsa_exception_fp_ieee_div_zero 0
		.amdhsa_exception_fp_ieee_overflow 0
		.amdhsa_exception_fp_ieee_underflow 0
		.amdhsa_exception_fp_ieee_inexact 0
		.amdhsa_exception_int_div_zero 0
	.end_amdhsa_kernel
	.section	.text._ZN7rocprim17ROCPRIM_400000_NS6detail17trampoline_kernelINS0_14default_configENS1_22reduce_config_selectorIfEEZNS1_11reduce_implILb1ES3_N6thrust23THRUST_200600_302600_NS11hip_rocprim26transform_input_iterator_tIfNS8_17counting_iteratorIiNS8_11use_defaultESC_SC_EE11estimate_piEEPffNS8_4plusIfEEEE10hipError_tPvRmT1_T2_T3_mT4_P12ihipStream_tbEUlT_E1_NS1_11comp_targetILNS1_3genE10ELNS1_11target_archE1201ELNS1_3gpuE5ELNS1_3repE0EEENS1_30default_config_static_selectorELNS0_4arch9wavefront6targetE1EEEvSM_,"axG",@progbits,_ZN7rocprim17ROCPRIM_400000_NS6detail17trampoline_kernelINS0_14default_configENS1_22reduce_config_selectorIfEEZNS1_11reduce_implILb1ES3_N6thrust23THRUST_200600_302600_NS11hip_rocprim26transform_input_iterator_tIfNS8_17counting_iteratorIiNS8_11use_defaultESC_SC_EE11estimate_piEEPffNS8_4plusIfEEEE10hipError_tPvRmT1_T2_T3_mT4_P12ihipStream_tbEUlT_E1_NS1_11comp_targetILNS1_3genE10ELNS1_11target_archE1201ELNS1_3gpuE5ELNS1_3repE0EEENS1_30default_config_static_selectorELNS0_4arch9wavefront6targetE1EEEvSM_,comdat
.Lfunc_end32:
	.size	_ZN7rocprim17ROCPRIM_400000_NS6detail17trampoline_kernelINS0_14default_configENS1_22reduce_config_selectorIfEEZNS1_11reduce_implILb1ES3_N6thrust23THRUST_200600_302600_NS11hip_rocprim26transform_input_iterator_tIfNS8_17counting_iteratorIiNS8_11use_defaultESC_SC_EE11estimate_piEEPffNS8_4plusIfEEEE10hipError_tPvRmT1_T2_T3_mT4_P12ihipStream_tbEUlT_E1_NS1_11comp_targetILNS1_3genE10ELNS1_11target_archE1201ELNS1_3gpuE5ELNS1_3repE0EEENS1_30default_config_static_selectorELNS0_4arch9wavefront6targetE1EEEvSM_, .Lfunc_end32-_ZN7rocprim17ROCPRIM_400000_NS6detail17trampoline_kernelINS0_14default_configENS1_22reduce_config_selectorIfEEZNS1_11reduce_implILb1ES3_N6thrust23THRUST_200600_302600_NS11hip_rocprim26transform_input_iterator_tIfNS8_17counting_iteratorIiNS8_11use_defaultESC_SC_EE11estimate_piEEPffNS8_4plusIfEEEE10hipError_tPvRmT1_T2_T3_mT4_P12ihipStream_tbEUlT_E1_NS1_11comp_targetILNS1_3genE10ELNS1_11target_archE1201ELNS1_3gpuE5ELNS1_3repE0EEENS1_30default_config_static_selectorELNS0_4arch9wavefront6targetE1EEEvSM_
                                        ; -- End function
	.section	.AMDGPU.csdata,"",@progbits
; Kernel info:
; codeLenInByte = 0
; NumSgprs: 4
; NumVgprs: 0
; NumAgprs: 0
; TotalNumVgprs: 0
; ScratchSize: 0
; MemoryBound: 0
; FloatMode: 240
; IeeeMode: 1
; LDSByteSize: 0 bytes/workgroup (compile time only)
; SGPRBlocks: 0
; VGPRBlocks: 0
; NumSGPRsForWavesPerEU: 4
; NumVGPRsForWavesPerEU: 1
; AccumOffset: 4
; Occupancy: 8
; WaveLimiterHint : 0
; COMPUTE_PGM_RSRC2:SCRATCH_EN: 0
; COMPUTE_PGM_RSRC2:USER_SGPR: 6
; COMPUTE_PGM_RSRC2:TRAP_HANDLER: 0
; COMPUTE_PGM_RSRC2:TGID_X_EN: 1
; COMPUTE_PGM_RSRC2:TGID_Y_EN: 0
; COMPUTE_PGM_RSRC2:TGID_Z_EN: 0
; COMPUTE_PGM_RSRC2:TIDIG_COMP_CNT: 0
; COMPUTE_PGM_RSRC3_GFX90A:ACCUM_OFFSET: 0
; COMPUTE_PGM_RSRC3_GFX90A:TG_SPLIT: 0
	.section	.text._ZN7rocprim17ROCPRIM_400000_NS6detail17trampoline_kernelINS0_14default_configENS1_22reduce_config_selectorIfEEZNS1_11reduce_implILb1ES3_N6thrust23THRUST_200600_302600_NS11hip_rocprim26transform_input_iterator_tIfNS8_17counting_iteratorIiNS8_11use_defaultESC_SC_EE11estimate_piEEPffNS8_4plusIfEEEE10hipError_tPvRmT1_T2_T3_mT4_P12ihipStream_tbEUlT_E1_NS1_11comp_targetILNS1_3genE10ELNS1_11target_archE1200ELNS1_3gpuE4ELNS1_3repE0EEENS1_30default_config_static_selectorELNS0_4arch9wavefront6targetE1EEEvSM_,"axG",@progbits,_ZN7rocprim17ROCPRIM_400000_NS6detail17trampoline_kernelINS0_14default_configENS1_22reduce_config_selectorIfEEZNS1_11reduce_implILb1ES3_N6thrust23THRUST_200600_302600_NS11hip_rocprim26transform_input_iterator_tIfNS8_17counting_iteratorIiNS8_11use_defaultESC_SC_EE11estimate_piEEPffNS8_4plusIfEEEE10hipError_tPvRmT1_T2_T3_mT4_P12ihipStream_tbEUlT_E1_NS1_11comp_targetILNS1_3genE10ELNS1_11target_archE1200ELNS1_3gpuE4ELNS1_3repE0EEENS1_30default_config_static_selectorELNS0_4arch9wavefront6targetE1EEEvSM_,comdat
	.protected	_ZN7rocprim17ROCPRIM_400000_NS6detail17trampoline_kernelINS0_14default_configENS1_22reduce_config_selectorIfEEZNS1_11reduce_implILb1ES3_N6thrust23THRUST_200600_302600_NS11hip_rocprim26transform_input_iterator_tIfNS8_17counting_iteratorIiNS8_11use_defaultESC_SC_EE11estimate_piEEPffNS8_4plusIfEEEE10hipError_tPvRmT1_T2_T3_mT4_P12ihipStream_tbEUlT_E1_NS1_11comp_targetILNS1_3genE10ELNS1_11target_archE1200ELNS1_3gpuE4ELNS1_3repE0EEENS1_30default_config_static_selectorELNS0_4arch9wavefront6targetE1EEEvSM_ ; -- Begin function _ZN7rocprim17ROCPRIM_400000_NS6detail17trampoline_kernelINS0_14default_configENS1_22reduce_config_selectorIfEEZNS1_11reduce_implILb1ES3_N6thrust23THRUST_200600_302600_NS11hip_rocprim26transform_input_iterator_tIfNS8_17counting_iteratorIiNS8_11use_defaultESC_SC_EE11estimate_piEEPffNS8_4plusIfEEEE10hipError_tPvRmT1_T2_T3_mT4_P12ihipStream_tbEUlT_E1_NS1_11comp_targetILNS1_3genE10ELNS1_11target_archE1200ELNS1_3gpuE4ELNS1_3repE0EEENS1_30default_config_static_selectorELNS0_4arch9wavefront6targetE1EEEvSM_
	.globl	_ZN7rocprim17ROCPRIM_400000_NS6detail17trampoline_kernelINS0_14default_configENS1_22reduce_config_selectorIfEEZNS1_11reduce_implILb1ES3_N6thrust23THRUST_200600_302600_NS11hip_rocprim26transform_input_iterator_tIfNS8_17counting_iteratorIiNS8_11use_defaultESC_SC_EE11estimate_piEEPffNS8_4plusIfEEEE10hipError_tPvRmT1_T2_T3_mT4_P12ihipStream_tbEUlT_E1_NS1_11comp_targetILNS1_3genE10ELNS1_11target_archE1200ELNS1_3gpuE4ELNS1_3repE0EEENS1_30default_config_static_selectorELNS0_4arch9wavefront6targetE1EEEvSM_
	.p2align	8
	.type	_ZN7rocprim17ROCPRIM_400000_NS6detail17trampoline_kernelINS0_14default_configENS1_22reduce_config_selectorIfEEZNS1_11reduce_implILb1ES3_N6thrust23THRUST_200600_302600_NS11hip_rocprim26transform_input_iterator_tIfNS8_17counting_iteratorIiNS8_11use_defaultESC_SC_EE11estimate_piEEPffNS8_4plusIfEEEE10hipError_tPvRmT1_T2_T3_mT4_P12ihipStream_tbEUlT_E1_NS1_11comp_targetILNS1_3genE10ELNS1_11target_archE1200ELNS1_3gpuE4ELNS1_3repE0EEENS1_30default_config_static_selectorELNS0_4arch9wavefront6targetE1EEEvSM_,@function
_ZN7rocprim17ROCPRIM_400000_NS6detail17trampoline_kernelINS0_14default_configENS1_22reduce_config_selectorIfEEZNS1_11reduce_implILb1ES3_N6thrust23THRUST_200600_302600_NS11hip_rocprim26transform_input_iterator_tIfNS8_17counting_iteratorIiNS8_11use_defaultESC_SC_EE11estimate_piEEPffNS8_4plusIfEEEE10hipError_tPvRmT1_T2_T3_mT4_P12ihipStream_tbEUlT_E1_NS1_11comp_targetILNS1_3genE10ELNS1_11target_archE1200ELNS1_3gpuE4ELNS1_3repE0EEENS1_30default_config_static_selectorELNS0_4arch9wavefront6targetE1EEEvSM_: ; @_ZN7rocprim17ROCPRIM_400000_NS6detail17trampoline_kernelINS0_14default_configENS1_22reduce_config_selectorIfEEZNS1_11reduce_implILb1ES3_N6thrust23THRUST_200600_302600_NS11hip_rocprim26transform_input_iterator_tIfNS8_17counting_iteratorIiNS8_11use_defaultESC_SC_EE11estimate_piEEPffNS8_4plusIfEEEE10hipError_tPvRmT1_T2_T3_mT4_P12ihipStream_tbEUlT_E1_NS1_11comp_targetILNS1_3genE10ELNS1_11target_archE1200ELNS1_3gpuE4ELNS1_3repE0EEENS1_30default_config_static_selectorELNS0_4arch9wavefront6targetE1EEEvSM_
; %bb.0:
	.section	.rodata,"a",@progbits
	.p2align	6, 0x0
	.amdhsa_kernel _ZN7rocprim17ROCPRIM_400000_NS6detail17trampoline_kernelINS0_14default_configENS1_22reduce_config_selectorIfEEZNS1_11reduce_implILb1ES3_N6thrust23THRUST_200600_302600_NS11hip_rocprim26transform_input_iterator_tIfNS8_17counting_iteratorIiNS8_11use_defaultESC_SC_EE11estimate_piEEPffNS8_4plusIfEEEE10hipError_tPvRmT1_T2_T3_mT4_P12ihipStream_tbEUlT_E1_NS1_11comp_targetILNS1_3genE10ELNS1_11target_archE1200ELNS1_3gpuE4ELNS1_3repE0EEENS1_30default_config_static_selectorELNS0_4arch9wavefront6targetE1EEEvSM_
		.amdhsa_group_segment_fixed_size 0
		.amdhsa_private_segment_fixed_size 0
		.amdhsa_kernarg_size 40
		.amdhsa_user_sgpr_count 6
		.amdhsa_user_sgpr_private_segment_buffer 1
		.amdhsa_user_sgpr_dispatch_ptr 0
		.amdhsa_user_sgpr_queue_ptr 0
		.amdhsa_user_sgpr_kernarg_segment_ptr 1
		.amdhsa_user_sgpr_dispatch_id 0
		.amdhsa_user_sgpr_flat_scratch_init 0
		.amdhsa_user_sgpr_kernarg_preload_length 0
		.amdhsa_user_sgpr_kernarg_preload_offset 0
		.amdhsa_user_sgpr_private_segment_size 0
		.amdhsa_uses_dynamic_stack 0
		.amdhsa_system_sgpr_private_segment_wavefront_offset 0
		.amdhsa_system_sgpr_workgroup_id_x 1
		.amdhsa_system_sgpr_workgroup_id_y 0
		.amdhsa_system_sgpr_workgroup_id_z 0
		.amdhsa_system_sgpr_workgroup_info 0
		.amdhsa_system_vgpr_workitem_id 0
		.amdhsa_next_free_vgpr 1
		.amdhsa_next_free_sgpr 0
		.amdhsa_accum_offset 4
		.amdhsa_reserve_vcc 0
		.amdhsa_reserve_flat_scratch 0
		.amdhsa_float_round_mode_32 0
		.amdhsa_float_round_mode_16_64 0
		.amdhsa_float_denorm_mode_32 3
		.amdhsa_float_denorm_mode_16_64 3
		.amdhsa_dx10_clamp 1
		.amdhsa_ieee_mode 1
		.amdhsa_fp16_overflow 0
		.amdhsa_tg_split 0
		.amdhsa_exception_fp_ieee_invalid_op 0
		.amdhsa_exception_fp_denorm_src 0
		.amdhsa_exception_fp_ieee_div_zero 0
		.amdhsa_exception_fp_ieee_overflow 0
		.amdhsa_exception_fp_ieee_underflow 0
		.amdhsa_exception_fp_ieee_inexact 0
		.amdhsa_exception_int_div_zero 0
	.end_amdhsa_kernel
	.section	.text._ZN7rocprim17ROCPRIM_400000_NS6detail17trampoline_kernelINS0_14default_configENS1_22reduce_config_selectorIfEEZNS1_11reduce_implILb1ES3_N6thrust23THRUST_200600_302600_NS11hip_rocprim26transform_input_iterator_tIfNS8_17counting_iteratorIiNS8_11use_defaultESC_SC_EE11estimate_piEEPffNS8_4plusIfEEEE10hipError_tPvRmT1_T2_T3_mT4_P12ihipStream_tbEUlT_E1_NS1_11comp_targetILNS1_3genE10ELNS1_11target_archE1200ELNS1_3gpuE4ELNS1_3repE0EEENS1_30default_config_static_selectorELNS0_4arch9wavefront6targetE1EEEvSM_,"axG",@progbits,_ZN7rocprim17ROCPRIM_400000_NS6detail17trampoline_kernelINS0_14default_configENS1_22reduce_config_selectorIfEEZNS1_11reduce_implILb1ES3_N6thrust23THRUST_200600_302600_NS11hip_rocprim26transform_input_iterator_tIfNS8_17counting_iteratorIiNS8_11use_defaultESC_SC_EE11estimate_piEEPffNS8_4plusIfEEEE10hipError_tPvRmT1_T2_T3_mT4_P12ihipStream_tbEUlT_E1_NS1_11comp_targetILNS1_3genE10ELNS1_11target_archE1200ELNS1_3gpuE4ELNS1_3repE0EEENS1_30default_config_static_selectorELNS0_4arch9wavefront6targetE1EEEvSM_,comdat
.Lfunc_end33:
	.size	_ZN7rocprim17ROCPRIM_400000_NS6detail17trampoline_kernelINS0_14default_configENS1_22reduce_config_selectorIfEEZNS1_11reduce_implILb1ES3_N6thrust23THRUST_200600_302600_NS11hip_rocprim26transform_input_iterator_tIfNS8_17counting_iteratorIiNS8_11use_defaultESC_SC_EE11estimate_piEEPffNS8_4plusIfEEEE10hipError_tPvRmT1_T2_T3_mT4_P12ihipStream_tbEUlT_E1_NS1_11comp_targetILNS1_3genE10ELNS1_11target_archE1200ELNS1_3gpuE4ELNS1_3repE0EEENS1_30default_config_static_selectorELNS0_4arch9wavefront6targetE1EEEvSM_, .Lfunc_end33-_ZN7rocprim17ROCPRIM_400000_NS6detail17trampoline_kernelINS0_14default_configENS1_22reduce_config_selectorIfEEZNS1_11reduce_implILb1ES3_N6thrust23THRUST_200600_302600_NS11hip_rocprim26transform_input_iterator_tIfNS8_17counting_iteratorIiNS8_11use_defaultESC_SC_EE11estimate_piEEPffNS8_4plusIfEEEE10hipError_tPvRmT1_T2_T3_mT4_P12ihipStream_tbEUlT_E1_NS1_11comp_targetILNS1_3genE10ELNS1_11target_archE1200ELNS1_3gpuE4ELNS1_3repE0EEENS1_30default_config_static_selectorELNS0_4arch9wavefront6targetE1EEEvSM_
                                        ; -- End function
	.section	.AMDGPU.csdata,"",@progbits
; Kernel info:
; codeLenInByte = 0
; NumSgprs: 4
; NumVgprs: 0
; NumAgprs: 0
; TotalNumVgprs: 0
; ScratchSize: 0
; MemoryBound: 0
; FloatMode: 240
; IeeeMode: 1
; LDSByteSize: 0 bytes/workgroup (compile time only)
; SGPRBlocks: 0
; VGPRBlocks: 0
; NumSGPRsForWavesPerEU: 4
; NumVGPRsForWavesPerEU: 1
; AccumOffset: 4
; Occupancy: 8
; WaveLimiterHint : 0
; COMPUTE_PGM_RSRC2:SCRATCH_EN: 0
; COMPUTE_PGM_RSRC2:USER_SGPR: 6
; COMPUTE_PGM_RSRC2:TRAP_HANDLER: 0
; COMPUTE_PGM_RSRC2:TGID_X_EN: 1
; COMPUTE_PGM_RSRC2:TGID_Y_EN: 0
; COMPUTE_PGM_RSRC2:TGID_Z_EN: 0
; COMPUTE_PGM_RSRC2:TIDIG_COMP_CNT: 0
; COMPUTE_PGM_RSRC3_GFX90A:ACCUM_OFFSET: 0
; COMPUTE_PGM_RSRC3_GFX90A:TG_SPLIT: 0
	.section	.text._ZN7rocprim17ROCPRIM_400000_NS6detail17trampoline_kernelINS0_14default_configENS1_22reduce_config_selectorIfEEZNS1_11reduce_implILb1ES3_N6thrust23THRUST_200600_302600_NS11hip_rocprim26transform_input_iterator_tIfNS8_17counting_iteratorIiNS8_11use_defaultESC_SC_EE11estimate_piEEPffNS8_4plusIfEEEE10hipError_tPvRmT1_T2_T3_mT4_P12ihipStream_tbEUlT_E1_NS1_11comp_targetILNS1_3genE9ELNS1_11target_archE1100ELNS1_3gpuE3ELNS1_3repE0EEENS1_30default_config_static_selectorELNS0_4arch9wavefront6targetE1EEEvSM_,"axG",@progbits,_ZN7rocprim17ROCPRIM_400000_NS6detail17trampoline_kernelINS0_14default_configENS1_22reduce_config_selectorIfEEZNS1_11reduce_implILb1ES3_N6thrust23THRUST_200600_302600_NS11hip_rocprim26transform_input_iterator_tIfNS8_17counting_iteratorIiNS8_11use_defaultESC_SC_EE11estimate_piEEPffNS8_4plusIfEEEE10hipError_tPvRmT1_T2_T3_mT4_P12ihipStream_tbEUlT_E1_NS1_11comp_targetILNS1_3genE9ELNS1_11target_archE1100ELNS1_3gpuE3ELNS1_3repE0EEENS1_30default_config_static_selectorELNS0_4arch9wavefront6targetE1EEEvSM_,comdat
	.protected	_ZN7rocprim17ROCPRIM_400000_NS6detail17trampoline_kernelINS0_14default_configENS1_22reduce_config_selectorIfEEZNS1_11reduce_implILb1ES3_N6thrust23THRUST_200600_302600_NS11hip_rocprim26transform_input_iterator_tIfNS8_17counting_iteratorIiNS8_11use_defaultESC_SC_EE11estimate_piEEPffNS8_4plusIfEEEE10hipError_tPvRmT1_T2_T3_mT4_P12ihipStream_tbEUlT_E1_NS1_11comp_targetILNS1_3genE9ELNS1_11target_archE1100ELNS1_3gpuE3ELNS1_3repE0EEENS1_30default_config_static_selectorELNS0_4arch9wavefront6targetE1EEEvSM_ ; -- Begin function _ZN7rocprim17ROCPRIM_400000_NS6detail17trampoline_kernelINS0_14default_configENS1_22reduce_config_selectorIfEEZNS1_11reduce_implILb1ES3_N6thrust23THRUST_200600_302600_NS11hip_rocprim26transform_input_iterator_tIfNS8_17counting_iteratorIiNS8_11use_defaultESC_SC_EE11estimate_piEEPffNS8_4plusIfEEEE10hipError_tPvRmT1_T2_T3_mT4_P12ihipStream_tbEUlT_E1_NS1_11comp_targetILNS1_3genE9ELNS1_11target_archE1100ELNS1_3gpuE3ELNS1_3repE0EEENS1_30default_config_static_selectorELNS0_4arch9wavefront6targetE1EEEvSM_
	.globl	_ZN7rocprim17ROCPRIM_400000_NS6detail17trampoline_kernelINS0_14default_configENS1_22reduce_config_selectorIfEEZNS1_11reduce_implILb1ES3_N6thrust23THRUST_200600_302600_NS11hip_rocprim26transform_input_iterator_tIfNS8_17counting_iteratorIiNS8_11use_defaultESC_SC_EE11estimate_piEEPffNS8_4plusIfEEEE10hipError_tPvRmT1_T2_T3_mT4_P12ihipStream_tbEUlT_E1_NS1_11comp_targetILNS1_3genE9ELNS1_11target_archE1100ELNS1_3gpuE3ELNS1_3repE0EEENS1_30default_config_static_selectorELNS0_4arch9wavefront6targetE1EEEvSM_
	.p2align	8
	.type	_ZN7rocprim17ROCPRIM_400000_NS6detail17trampoline_kernelINS0_14default_configENS1_22reduce_config_selectorIfEEZNS1_11reduce_implILb1ES3_N6thrust23THRUST_200600_302600_NS11hip_rocprim26transform_input_iterator_tIfNS8_17counting_iteratorIiNS8_11use_defaultESC_SC_EE11estimate_piEEPffNS8_4plusIfEEEE10hipError_tPvRmT1_T2_T3_mT4_P12ihipStream_tbEUlT_E1_NS1_11comp_targetILNS1_3genE9ELNS1_11target_archE1100ELNS1_3gpuE3ELNS1_3repE0EEENS1_30default_config_static_selectorELNS0_4arch9wavefront6targetE1EEEvSM_,@function
_ZN7rocprim17ROCPRIM_400000_NS6detail17trampoline_kernelINS0_14default_configENS1_22reduce_config_selectorIfEEZNS1_11reduce_implILb1ES3_N6thrust23THRUST_200600_302600_NS11hip_rocprim26transform_input_iterator_tIfNS8_17counting_iteratorIiNS8_11use_defaultESC_SC_EE11estimate_piEEPffNS8_4plusIfEEEE10hipError_tPvRmT1_T2_T3_mT4_P12ihipStream_tbEUlT_E1_NS1_11comp_targetILNS1_3genE9ELNS1_11target_archE1100ELNS1_3gpuE3ELNS1_3repE0EEENS1_30default_config_static_selectorELNS0_4arch9wavefront6targetE1EEEvSM_: ; @_ZN7rocprim17ROCPRIM_400000_NS6detail17trampoline_kernelINS0_14default_configENS1_22reduce_config_selectorIfEEZNS1_11reduce_implILb1ES3_N6thrust23THRUST_200600_302600_NS11hip_rocprim26transform_input_iterator_tIfNS8_17counting_iteratorIiNS8_11use_defaultESC_SC_EE11estimate_piEEPffNS8_4plusIfEEEE10hipError_tPvRmT1_T2_T3_mT4_P12ihipStream_tbEUlT_E1_NS1_11comp_targetILNS1_3genE9ELNS1_11target_archE1100ELNS1_3gpuE3ELNS1_3repE0EEENS1_30default_config_static_selectorELNS0_4arch9wavefront6targetE1EEEvSM_
; %bb.0:
	.section	.rodata,"a",@progbits
	.p2align	6, 0x0
	.amdhsa_kernel _ZN7rocprim17ROCPRIM_400000_NS6detail17trampoline_kernelINS0_14default_configENS1_22reduce_config_selectorIfEEZNS1_11reduce_implILb1ES3_N6thrust23THRUST_200600_302600_NS11hip_rocprim26transform_input_iterator_tIfNS8_17counting_iteratorIiNS8_11use_defaultESC_SC_EE11estimate_piEEPffNS8_4plusIfEEEE10hipError_tPvRmT1_T2_T3_mT4_P12ihipStream_tbEUlT_E1_NS1_11comp_targetILNS1_3genE9ELNS1_11target_archE1100ELNS1_3gpuE3ELNS1_3repE0EEENS1_30default_config_static_selectorELNS0_4arch9wavefront6targetE1EEEvSM_
		.amdhsa_group_segment_fixed_size 0
		.amdhsa_private_segment_fixed_size 0
		.amdhsa_kernarg_size 40
		.amdhsa_user_sgpr_count 6
		.amdhsa_user_sgpr_private_segment_buffer 1
		.amdhsa_user_sgpr_dispatch_ptr 0
		.amdhsa_user_sgpr_queue_ptr 0
		.amdhsa_user_sgpr_kernarg_segment_ptr 1
		.amdhsa_user_sgpr_dispatch_id 0
		.amdhsa_user_sgpr_flat_scratch_init 0
		.amdhsa_user_sgpr_kernarg_preload_length 0
		.amdhsa_user_sgpr_kernarg_preload_offset 0
		.amdhsa_user_sgpr_private_segment_size 0
		.amdhsa_uses_dynamic_stack 0
		.amdhsa_system_sgpr_private_segment_wavefront_offset 0
		.amdhsa_system_sgpr_workgroup_id_x 1
		.amdhsa_system_sgpr_workgroup_id_y 0
		.amdhsa_system_sgpr_workgroup_id_z 0
		.amdhsa_system_sgpr_workgroup_info 0
		.amdhsa_system_vgpr_workitem_id 0
		.amdhsa_next_free_vgpr 1
		.amdhsa_next_free_sgpr 0
		.amdhsa_accum_offset 4
		.amdhsa_reserve_vcc 0
		.amdhsa_reserve_flat_scratch 0
		.amdhsa_float_round_mode_32 0
		.amdhsa_float_round_mode_16_64 0
		.amdhsa_float_denorm_mode_32 3
		.amdhsa_float_denorm_mode_16_64 3
		.amdhsa_dx10_clamp 1
		.amdhsa_ieee_mode 1
		.amdhsa_fp16_overflow 0
		.amdhsa_tg_split 0
		.amdhsa_exception_fp_ieee_invalid_op 0
		.amdhsa_exception_fp_denorm_src 0
		.amdhsa_exception_fp_ieee_div_zero 0
		.amdhsa_exception_fp_ieee_overflow 0
		.amdhsa_exception_fp_ieee_underflow 0
		.amdhsa_exception_fp_ieee_inexact 0
		.amdhsa_exception_int_div_zero 0
	.end_amdhsa_kernel
	.section	.text._ZN7rocprim17ROCPRIM_400000_NS6detail17trampoline_kernelINS0_14default_configENS1_22reduce_config_selectorIfEEZNS1_11reduce_implILb1ES3_N6thrust23THRUST_200600_302600_NS11hip_rocprim26transform_input_iterator_tIfNS8_17counting_iteratorIiNS8_11use_defaultESC_SC_EE11estimate_piEEPffNS8_4plusIfEEEE10hipError_tPvRmT1_T2_T3_mT4_P12ihipStream_tbEUlT_E1_NS1_11comp_targetILNS1_3genE9ELNS1_11target_archE1100ELNS1_3gpuE3ELNS1_3repE0EEENS1_30default_config_static_selectorELNS0_4arch9wavefront6targetE1EEEvSM_,"axG",@progbits,_ZN7rocprim17ROCPRIM_400000_NS6detail17trampoline_kernelINS0_14default_configENS1_22reduce_config_selectorIfEEZNS1_11reduce_implILb1ES3_N6thrust23THRUST_200600_302600_NS11hip_rocprim26transform_input_iterator_tIfNS8_17counting_iteratorIiNS8_11use_defaultESC_SC_EE11estimate_piEEPffNS8_4plusIfEEEE10hipError_tPvRmT1_T2_T3_mT4_P12ihipStream_tbEUlT_E1_NS1_11comp_targetILNS1_3genE9ELNS1_11target_archE1100ELNS1_3gpuE3ELNS1_3repE0EEENS1_30default_config_static_selectorELNS0_4arch9wavefront6targetE1EEEvSM_,comdat
.Lfunc_end34:
	.size	_ZN7rocprim17ROCPRIM_400000_NS6detail17trampoline_kernelINS0_14default_configENS1_22reduce_config_selectorIfEEZNS1_11reduce_implILb1ES3_N6thrust23THRUST_200600_302600_NS11hip_rocprim26transform_input_iterator_tIfNS8_17counting_iteratorIiNS8_11use_defaultESC_SC_EE11estimate_piEEPffNS8_4plusIfEEEE10hipError_tPvRmT1_T2_T3_mT4_P12ihipStream_tbEUlT_E1_NS1_11comp_targetILNS1_3genE9ELNS1_11target_archE1100ELNS1_3gpuE3ELNS1_3repE0EEENS1_30default_config_static_selectorELNS0_4arch9wavefront6targetE1EEEvSM_, .Lfunc_end34-_ZN7rocprim17ROCPRIM_400000_NS6detail17trampoline_kernelINS0_14default_configENS1_22reduce_config_selectorIfEEZNS1_11reduce_implILb1ES3_N6thrust23THRUST_200600_302600_NS11hip_rocprim26transform_input_iterator_tIfNS8_17counting_iteratorIiNS8_11use_defaultESC_SC_EE11estimate_piEEPffNS8_4plusIfEEEE10hipError_tPvRmT1_T2_T3_mT4_P12ihipStream_tbEUlT_E1_NS1_11comp_targetILNS1_3genE9ELNS1_11target_archE1100ELNS1_3gpuE3ELNS1_3repE0EEENS1_30default_config_static_selectorELNS0_4arch9wavefront6targetE1EEEvSM_
                                        ; -- End function
	.section	.AMDGPU.csdata,"",@progbits
; Kernel info:
; codeLenInByte = 0
; NumSgprs: 4
; NumVgprs: 0
; NumAgprs: 0
; TotalNumVgprs: 0
; ScratchSize: 0
; MemoryBound: 0
; FloatMode: 240
; IeeeMode: 1
; LDSByteSize: 0 bytes/workgroup (compile time only)
; SGPRBlocks: 0
; VGPRBlocks: 0
; NumSGPRsForWavesPerEU: 4
; NumVGPRsForWavesPerEU: 1
; AccumOffset: 4
; Occupancy: 8
; WaveLimiterHint : 0
; COMPUTE_PGM_RSRC2:SCRATCH_EN: 0
; COMPUTE_PGM_RSRC2:USER_SGPR: 6
; COMPUTE_PGM_RSRC2:TRAP_HANDLER: 0
; COMPUTE_PGM_RSRC2:TGID_X_EN: 1
; COMPUTE_PGM_RSRC2:TGID_Y_EN: 0
; COMPUTE_PGM_RSRC2:TGID_Z_EN: 0
; COMPUTE_PGM_RSRC2:TIDIG_COMP_CNT: 0
; COMPUTE_PGM_RSRC3_GFX90A:ACCUM_OFFSET: 0
; COMPUTE_PGM_RSRC3_GFX90A:TG_SPLIT: 0
	.section	.text._ZN7rocprim17ROCPRIM_400000_NS6detail17trampoline_kernelINS0_14default_configENS1_22reduce_config_selectorIfEEZNS1_11reduce_implILb1ES3_N6thrust23THRUST_200600_302600_NS11hip_rocprim26transform_input_iterator_tIfNS8_17counting_iteratorIiNS8_11use_defaultESC_SC_EE11estimate_piEEPffNS8_4plusIfEEEE10hipError_tPvRmT1_T2_T3_mT4_P12ihipStream_tbEUlT_E1_NS1_11comp_targetILNS1_3genE8ELNS1_11target_archE1030ELNS1_3gpuE2ELNS1_3repE0EEENS1_30default_config_static_selectorELNS0_4arch9wavefront6targetE1EEEvSM_,"axG",@progbits,_ZN7rocprim17ROCPRIM_400000_NS6detail17trampoline_kernelINS0_14default_configENS1_22reduce_config_selectorIfEEZNS1_11reduce_implILb1ES3_N6thrust23THRUST_200600_302600_NS11hip_rocprim26transform_input_iterator_tIfNS8_17counting_iteratorIiNS8_11use_defaultESC_SC_EE11estimate_piEEPffNS8_4plusIfEEEE10hipError_tPvRmT1_T2_T3_mT4_P12ihipStream_tbEUlT_E1_NS1_11comp_targetILNS1_3genE8ELNS1_11target_archE1030ELNS1_3gpuE2ELNS1_3repE0EEENS1_30default_config_static_selectorELNS0_4arch9wavefront6targetE1EEEvSM_,comdat
	.protected	_ZN7rocprim17ROCPRIM_400000_NS6detail17trampoline_kernelINS0_14default_configENS1_22reduce_config_selectorIfEEZNS1_11reduce_implILb1ES3_N6thrust23THRUST_200600_302600_NS11hip_rocprim26transform_input_iterator_tIfNS8_17counting_iteratorIiNS8_11use_defaultESC_SC_EE11estimate_piEEPffNS8_4plusIfEEEE10hipError_tPvRmT1_T2_T3_mT4_P12ihipStream_tbEUlT_E1_NS1_11comp_targetILNS1_3genE8ELNS1_11target_archE1030ELNS1_3gpuE2ELNS1_3repE0EEENS1_30default_config_static_selectorELNS0_4arch9wavefront6targetE1EEEvSM_ ; -- Begin function _ZN7rocprim17ROCPRIM_400000_NS6detail17trampoline_kernelINS0_14default_configENS1_22reduce_config_selectorIfEEZNS1_11reduce_implILb1ES3_N6thrust23THRUST_200600_302600_NS11hip_rocprim26transform_input_iterator_tIfNS8_17counting_iteratorIiNS8_11use_defaultESC_SC_EE11estimate_piEEPffNS8_4plusIfEEEE10hipError_tPvRmT1_T2_T3_mT4_P12ihipStream_tbEUlT_E1_NS1_11comp_targetILNS1_3genE8ELNS1_11target_archE1030ELNS1_3gpuE2ELNS1_3repE0EEENS1_30default_config_static_selectorELNS0_4arch9wavefront6targetE1EEEvSM_
	.globl	_ZN7rocprim17ROCPRIM_400000_NS6detail17trampoline_kernelINS0_14default_configENS1_22reduce_config_selectorIfEEZNS1_11reduce_implILb1ES3_N6thrust23THRUST_200600_302600_NS11hip_rocprim26transform_input_iterator_tIfNS8_17counting_iteratorIiNS8_11use_defaultESC_SC_EE11estimate_piEEPffNS8_4plusIfEEEE10hipError_tPvRmT1_T2_T3_mT4_P12ihipStream_tbEUlT_E1_NS1_11comp_targetILNS1_3genE8ELNS1_11target_archE1030ELNS1_3gpuE2ELNS1_3repE0EEENS1_30default_config_static_selectorELNS0_4arch9wavefront6targetE1EEEvSM_
	.p2align	8
	.type	_ZN7rocprim17ROCPRIM_400000_NS6detail17trampoline_kernelINS0_14default_configENS1_22reduce_config_selectorIfEEZNS1_11reduce_implILb1ES3_N6thrust23THRUST_200600_302600_NS11hip_rocprim26transform_input_iterator_tIfNS8_17counting_iteratorIiNS8_11use_defaultESC_SC_EE11estimate_piEEPffNS8_4plusIfEEEE10hipError_tPvRmT1_T2_T3_mT4_P12ihipStream_tbEUlT_E1_NS1_11comp_targetILNS1_3genE8ELNS1_11target_archE1030ELNS1_3gpuE2ELNS1_3repE0EEENS1_30default_config_static_selectorELNS0_4arch9wavefront6targetE1EEEvSM_,@function
_ZN7rocprim17ROCPRIM_400000_NS6detail17trampoline_kernelINS0_14default_configENS1_22reduce_config_selectorIfEEZNS1_11reduce_implILb1ES3_N6thrust23THRUST_200600_302600_NS11hip_rocprim26transform_input_iterator_tIfNS8_17counting_iteratorIiNS8_11use_defaultESC_SC_EE11estimate_piEEPffNS8_4plusIfEEEE10hipError_tPvRmT1_T2_T3_mT4_P12ihipStream_tbEUlT_E1_NS1_11comp_targetILNS1_3genE8ELNS1_11target_archE1030ELNS1_3gpuE2ELNS1_3repE0EEENS1_30default_config_static_selectorELNS0_4arch9wavefront6targetE1EEEvSM_: ; @_ZN7rocprim17ROCPRIM_400000_NS6detail17trampoline_kernelINS0_14default_configENS1_22reduce_config_selectorIfEEZNS1_11reduce_implILb1ES3_N6thrust23THRUST_200600_302600_NS11hip_rocprim26transform_input_iterator_tIfNS8_17counting_iteratorIiNS8_11use_defaultESC_SC_EE11estimate_piEEPffNS8_4plusIfEEEE10hipError_tPvRmT1_T2_T3_mT4_P12ihipStream_tbEUlT_E1_NS1_11comp_targetILNS1_3genE8ELNS1_11target_archE1030ELNS1_3gpuE2ELNS1_3repE0EEENS1_30default_config_static_selectorELNS0_4arch9wavefront6targetE1EEEvSM_
; %bb.0:
	.section	.rodata,"a",@progbits
	.p2align	6, 0x0
	.amdhsa_kernel _ZN7rocprim17ROCPRIM_400000_NS6detail17trampoline_kernelINS0_14default_configENS1_22reduce_config_selectorIfEEZNS1_11reduce_implILb1ES3_N6thrust23THRUST_200600_302600_NS11hip_rocprim26transform_input_iterator_tIfNS8_17counting_iteratorIiNS8_11use_defaultESC_SC_EE11estimate_piEEPffNS8_4plusIfEEEE10hipError_tPvRmT1_T2_T3_mT4_P12ihipStream_tbEUlT_E1_NS1_11comp_targetILNS1_3genE8ELNS1_11target_archE1030ELNS1_3gpuE2ELNS1_3repE0EEENS1_30default_config_static_selectorELNS0_4arch9wavefront6targetE1EEEvSM_
		.amdhsa_group_segment_fixed_size 0
		.amdhsa_private_segment_fixed_size 0
		.amdhsa_kernarg_size 40
		.amdhsa_user_sgpr_count 6
		.amdhsa_user_sgpr_private_segment_buffer 1
		.amdhsa_user_sgpr_dispatch_ptr 0
		.amdhsa_user_sgpr_queue_ptr 0
		.amdhsa_user_sgpr_kernarg_segment_ptr 1
		.amdhsa_user_sgpr_dispatch_id 0
		.amdhsa_user_sgpr_flat_scratch_init 0
		.amdhsa_user_sgpr_kernarg_preload_length 0
		.amdhsa_user_sgpr_kernarg_preload_offset 0
		.amdhsa_user_sgpr_private_segment_size 0
		.amdhsa_uses_dynamic_stack 0
		.amdhsa_system_sgpr_private_segment_wavefront_offset 0
		.amdhsa_system_sgpr_workgroup_id_x 1
		.amdhsa_system_sgpr_workgroup_id_y 0
		.amdhsa_system_sgpr_workgroup_id_z 0
		.amdhsa_system_sgpr_workgroup_info 0
		.amdhsa_system_vgpr_workitem_id 0
		.amdhsa_next_free_vgpr 1
		.amdhsa_next_free_sgpr 0
		.amdhsa_accum_offset 4
		.amdhsa_reserve_vcc 0
		.amdhsa_reserve_flat_scratch 0
		.amdhsa_float_round_mode_32 0
		.amdhsa_float_round_mode_16_64 0
		.amdhsa_float_denorm_mode_32 3
		.amdhsa_float_denorm_mode_16_64 3
		.amdhsa_dx10_clamp 1
		.amdhsa_ieee_mode 1
		.amdhsa_fp16_overflow 0
		.amdhsa_tg_split 0
		.amdhsa_exception_fp_ieee_invalid_op 0
		.amdhsa_exception_fp_denorm_src 0
		.amdhsa_exception_fp_ieee_div_zero 0
		.amdhsa_exception_fp_ieee_overflow 0
		.amdhsa_exception_fp_ieee_underflow 0
		.amdhsa_exception_fp_ieee_inexact 0
		.amdhsa_exception_int_div_zero 0
	.end_amdhsa_kernel
	.section	.text._ZN7rocprim17ROCPRIM_400000_NS6detail17trampoline_kernelINS0_14default_configENS1_22reduce_config_selectorIfEEZNS1_11reduce_implILb1ES3_N6thrust23THRUST_200600_302600_NS11hip_rocprim26transform_input_iterator_tIfNS8_17counting_iteratorIiNS8_11use_defaultESC_SC_EE11estimate_piEEPffNS8_4plusIfEEEE10hipError_tPvRmT1_T2_T3_mT4_P12ihipStream_tbEUlT_E1_NS1_11comp_targetILNS1_3genE8ELNS1_11target_archE1030ELNS1_3gpuE2ELNS1_3repE0EEENS1_30default_config_static_selectorELNS0_4arch9wavefront6targetE1EEEvSM_,"axG",@progbits,_ZN7rocprim17ROCPRIM_400000_NS6detail17trampoline_kernelINS0_14default_configENS1_22reduce_config_selectorIfEEZNS1_11reduce_implILb1ES3_N6thrust23THRUST_200600_302600_NS11hip_rocprim26transform_input_iterator_tIfNS8_17counting_iteratorIiNS8_11use_defaultESC_SC_EE11estimate_piEEPffNS8_4plusIfEEEE10hipError_tPvRmT1_T2_T3_mT4_P12ihipStream_tbEUlT_E1_NS1_11comp_targetILNS1_3genE8ELNS1_11target_archE1030ELNS1_3gpuE2ELNS1_3repE0EEENS1_30default_config_static_selectorELNS0_4arch9wavefront6targetE1EEEvSM_,comdat
.Lfunc_end35:
	.size	_ZN7rocprim17ROCPRIM_400000_NS6detail17trampoline_kernelINS0_14default_configENS1_22reduce_config_selectorIfEEZNS1_11reduce_implILb1ES3_N6thrust23THRUST_200600_302600_NS11hip_rocprim26transform_input_iterator_tIfNS8_17counting_iteratorIiNS8_11use_defaultESC_SC_EE11estimate_piEEPffNS8_4plusIfEEEE10hipError_tPvRmT1_T2_T3_mT4_P12ihipStream_tbEUlT_E1_NS1_11comp_targetILNS1_3genE8ELNS1_11target_archE1030ELNS1_3gpuE2ELNS1_3repE0EEENS1_30default_config_static_selectorELNS0_4arch9wavefront6targetE1EEEvSM_, .Lfunc_end35-_ZN7rocprim17ROCPRIM_400000_NS6detail17trampoline_kernelINS0_14default_configENS1_22reduce_config_selectorIfEEZNS1_11reduce_implILb1ES3_N6thrust23THRUST_200600_302600_NS11hip_rocprim26transform_input_iterator_tIfNS8_17counting_iteratorIiNS8_11use_defaultESC_SC_EE11estimate_piEEPffNS8_4plusIfEEEE10hipError_tPvRmT1_T2_T3_mT4_P12ihipStream_tbEUlT_E1_NS1_11comp_targetILNS1_3genE8ELNS1_11target_archE1030ELNS1_3gpuE2ELNS1_3repE0EEENS1_30default_config_static_selectorELNS0_4arch9wavefront6targetE1EEEvSM_
                                        ; -- End function
	.section	.AMDGPU.csdata,"",@progbits
; Kernel info:
; codeLenInByte = 0
; NumSgprs: 4
; NumVgprs: 0
; NumAgprs: 0
; TotalNumVgprs: 0
; ScratchSize: 0
; MemoryBound: 0
; FloatMode: 240
; IeeeMode: 1
; LDSByteSize: 0 bytes/workgroup (compile time only)
; SGPRBlocks: 0
; VGPRBlocks: 0
; NumSGPRsForWavesPerEU: 4
; NumVGPRsForWavesPerEU: 1
; AccumOffset: 4
; Occupancy: 8
; WaveLimiterHint : 0
; COMPUTE_PGM_RSRC2:SCRATCH_EN: 0
; COMPUTE_PGM_RSRC2:USER_SGPR: 6
; COMPUTE_PGM_RSRC2:TRAP_HANDLER: 0
; COMPUTE_PGM_RSRC2:TGID_X_EN: 1
; COMPUTE_PGM_RSRC2:TGID_Y_EN: 0
; COMPUTE_PGM_RSRC2:TGID_Z_EN: 0
; COMPUTE_PGM_RSRC2:TIDIG_COMP_CNT: 0
; COMPUTE_PGM_RSRC3_GFX90A:ACCUM_OFFSET: 0
; COMPUTE_PGM_RSRC3_GFX90A:TG_SPLIT: 0
	.text
	.p2alignl 6, 3212836864
	.fill 256, 4, 3212836864
	.type	__hip_cuid_28af7c211956135c,@object ; @__hip_cuid_28af7c211956135c
	.section	.bss,"aw",@nobits
	.globl	__hip_cuid_28af7c211956135c
__hip_cuid_28af7c211956135c:
	.byte	0                               ; 0x0
	.size	__hip_cuid_28af7c211956135c, 1

	.ident	"AMD clang version 19.0.0git (https://github.com/RadeonOpenCompute/llvm-project roc-6.4.0 25133 c7fe45cf4b819c5991fe208aaa96edf142730f1d)"
	.section	".note.GNU-stack","",@progbits
	.addrsig
	.addrsig_sym __hip_cuid_28af7c211956135c
	.amdgpu_metadata
---
amdhsa.kernels:
  - .agpr_count:     0
    .args:
      - .offset:         0
        .size:           56
        .value_kind:     by_value
    .group_segment_fixed_size: 0
    .kernarg_segment_align: 8
    .kernarg_segment_size: 56
    .language:       OpenCL C
    .language_version:
      - 2
      - 0
    .max_flat_workgroup_size: 256
    .name:           _ZN7rocprim17ROCPRIM_400000_NS6detail17trampoline_kernelINS0_14default_configENS1_22reduce_config_selectorIfEEZNS1_11reduce_implILb1ES3_PfS7_fN6thrust23THRUST_200600_302600_NS4plusIfEEEE10hipError_tPvRmT1_T2_T3_mT4_P12ihipStream_tbEUlT_E0_NS1_11comp_targetILNS1_3genE0ELNS1_11target_archE4294967295ELNS1_3gpuE0ELNS1_3repE0EEENS1_30default_config_static_selectorELNS0_4arch9wavefront6targetE1EEEvSF_
    .private_segment_fixed_size: 0
    .sgpr_count:     4
    .sgpr_spill_count: 0
    .symbol:         _ZN7rocprim17ROCPRIM_400000_NS6detail17trampoline_kernelINS0_14default_configENS1_22reduce_config_selectorIfEEZNS1_11reduce_implILb1ES3_PfS7_fN6thrust23THRUST_200600_302600_NS4plusIfEEEE10hipError_tPvRmT1_T2_T3_mT4_P12ihipStream_tbEUlT_E0_NS1_11comp_targetILNS1_3genE0ELNS1_11target_archE4294967295ELNS1_3gpuE0ELNS1_3repE0EEENS1_30default_config_static_selectorELNS0_4arch9wavefront6targetE1EEEvSF_.kd
    .uniform_work_group_size: 1
    .uses_dynamic_stack: false
    .vgpr_count:     0
    .vgpr_spill_count: 0
    .wavefront_size: 64
  - .agpr_count:     0
    .args:
      - .offset:         0
        .size:           56
        .value_kind:     by_value
    .group_segment_fixed_size: 0
    .kernarg_segment_align: 8
    .kernarg_segment_size: 56
    .language:       OpenCL C
    .language_version:
      - 2
      - 0
    .max_flat_workgroup_size: 128
    .name:           _ZN7rocprim17ROCPRIM_400000_NS6detail17trampoline_kernelINS0_14default_configENS1_22reduce_config_selectorIfEEZNS1_11reduce_implILb1ES3_PfS7_fN6thrust23THRUST_200600_302600_NS4plusIfEEEE10hipError_tPvRmT1_T2_T3_mT4_P12ihipStream_tbEUlT_E0_NS1_11comp_targetILNS1_3genE5ELNS1_11target_archE942ELNS1_3gpuE9ELNS1_3repE0EEENS1_30default_config_static_selectorELNS0_4arch9wavefront6targetE1EEEvSF_
    .private_segment_fixed_size: 0
    .sgpr_count:     4
    .sgpr_spill_count: 0
    .symbol:         _ZN7rocprim17ROCPRIM_400000_NS6detail17trampoline_kernelINS0_14default_configENS1_22reduce_config_selectorIfEEZNS1_11reduce_implILb1ES3_PfS7_fN6thrust23THRUST_200600_302600_NS4plusIfEEEE10hipError_tPvRmT1_T2_T3_mT4_P12ihipStream_tbEUlT_E0_NS1_11comp_targetILNS1_3genE5ELNS1_11target_archE942ELNS1_3gpuE9ELNS1_3repE0EEENS1_30default_config_static_selectorELNS0_4arch9wavefront6targetE1EEEvSF_.kd
    .uniform_work_group_size: 1
    .uses_dynamic_stack: false
    .vgpr_count:     0
    .vgpr_spill_count: 0
    .wavefront_size: 64
  - .agpr_count:     0
    .args:
      - .offset:         0
        .size:           56
        .value_kind:     by_value
    .group_segment_fixed_size: 16
    .kernarg_segment_align: 8
    .kernarg_segment_size: 56
    .language:       OpenCL C
    .language_version:
      - 2
      - 0
    .max_flat_workgroup_size: 128
    .name:           _ZN7rocprim17ROCPRIM_400000_NS6detail17trampoline_kernelINS0_14default_configENS1_22reduce_config_selectorIfEEZNS1_11reduce_implILb1ES3_PfS7_fN6thrust23THRUST_200600_302600_NS4plusIfEEEE10hipError_tPvRmT1_T2_T3_mT4_P12ihipStream_tbEUlT_E0_NS1_11comp_targetILNS1_3genE4ELNS1_11target_archE910ELNS1_3gpuE8ELNS1_3repE0EEENS1_30default_config_static_selectorELNS0_4arch9wavefront6targetE1EEEvSF_
    .private_segment_fixed_size: 0
    .sgpr_count:     32
    .sgpr_spill_count: 0
    .symbol:         _ZN7rocprim17ROCPRIM_400000_NS6detail17trampoline_kernelINS0_14default_configENS1_22reduce_config_selectorIfEEZNS1_11reduce_implILb1ES3_PfS7_fN6thrust23THRUST_200600_302600_NS4plusIfEEEE10hipError_tPvRmT1_T2_T3_mT4_P12ihipStream_tbEUlT_E0_NS1_11comp_targetILNS1_3genE4ELNS1_11target_archE910ELNS1_3gpuE8ELNS1_3repE0EEENS1_30default_config_static_selectorELNS0_4arch9wavefront6targetE1EEEvSF_.kd
    .uniform_work_group_size: 1
    .uses_dynamic_stack: false
    .vgpr_count:     13
    .vgpr_spill_count: 0
    .wavefront_size: 64
  - .agpr_count:     0
    .args:
      - .offset:         0
        .size:           56
        .value_kind:     by_value
    .group_segment_fixed_size: 0
    .kernarg_segment_align: 8
    .kernarg_segment_size: 56
    .language:       OpenCL C
    .language_version:
      - 2
      - 0
    .max_flat_workgroup_size: 256
    .name:           _ZN7rocprim17ROCPRIM_400000_NS6detail17trampoline_kernelINS0_14default_configENS1_22reduce_config_selectorIfEEZNS1_11reduce_implILb1ES3_PfS7_fN6thrust23THRUST_200600_302600_NS4plusIfEEEE10hipError_tPvRmT1_T2_T3_mT4_P12ihipStream_tbEUlT_E0_NS1_11comp_targetILNS1_3genE3ELNS1_11target_archE908ELNS1_3gpuE7ELNS1_3repE0EEENS1_30default_config_static_selectorELNS0_4arch9wavefront6targetE1EEEvSF_
    .private_segment_fixed_size: 0
    .sgpr_count:     4
    .sgpr_spill_count: 0
    .symbol:         _ZN7rocprim17ROCPRIM_400000_NS6detail17trampoline_kernelINS0_14default_configENS1_22reduce_config_selectorIfEEZNS1_11reduce_implILb1ES3_PfS7_fN6thrust23THRUST_200600_302600_NS4plusIfEEEE10hipError_tPvRmT1_T2_T3_mT4_P12ihipStream_tbEUlT_E0_NS1_11comp_targetILNS1_3genE3ELNS1_11target_archE908ELNS1_3gpuE7ELNS1_3repE0EEENS1_30default_config_static_selectorELNS0_4arch9wavefront6targetE1EEEvSF_.kd
    .uniform_work_group_size: 1
    .uses_dynamic_stack: false
    .vgpr_count:     0
    .vgpr_spill_count: 0
    .wavefront_size: 64
  - .agpr_count:     0
    .args:
      - .offset:         0
        .size:           56
        .value_kind:     by_value
    .group_segment_fixed_size: 0
    .kernarg_segment_align: 8
    .kernarg_segment_size: 56
    .language:       OpenCL C
    .language_version:
      - 2
      - 0
    .max_flat_workgroup_size: 256
    .name:           _ZN7rocprim17ROCPRIM_400000_NS6detail17trampoline_kernelINS0_14default_configENS1_22reduce_config_selectorIfEEZNS1_11reduce_implILb1ES3_PfS7_fN6thrust23THRUST_200600_302600_NS4plusIfEEEE10hipError_tPvRmT1_T2_T3_mT4_P12ihipStream_tbEUlT_E0_NS1_11comp_targetILNS1_3genE2ELNS1_11target_archE906ELNS1_3gpuE6ELNS1_3repE0EEENS1_30default_config_static_selectorELNS0_4arch9wavefront6targetE1EEEvSF_
    .private_segment_fixed_size: 0
    .sgpr_count:     4
    .sgpr_spill_count: 0
    .symbol:         _ZN7rocprim17ROCPRIM_400000_NS6detail17trampoline_kernelINS0_14default_configENS1_22reduce_config_selectorIfEEZNS1_11reduce_implILb1ES3_PfS7_fN6thrust23THRUST_200600_302600_NS4plusIfEEEE10hipError_tPvRmT1_T2_T3_mT4_P12ihipStream_tbEUlT_E0_NS1_11comp_targetILNS1_3genE2ELNS1_11target_archE906ELNS1_3gpuE6ELNS1_3repE0EEENS1_30default_config_static_selectorELNS0_4arch9wavefront6targetE1EEEvSF_.kd
    .uniform_work_group_size: 1
    .uses_dynamic_stack: false
    .vgpr_count:     0
    .vgpr_spill_count: 0
    .wavefront_size: 64
  - .agpr_count:     0
    .args:
      - .offset:         0
        .size:           56
        .value_kind:     by_value
    .group_segment_fixed_size: 0
    .kernarg_segment_align: 8
    .kernarg_segment_size: 56
    .language:       OpenCL C
    .language_version:
      - 2
      - 0
    .max_flat_workgroup_size: 256
    .name:           _ZN7rocprim17ROCPRIM_400000_NS6detail17trampoline_kernelINS0_14default_configENS1_22reduce_config_selectorIfEEZNS1_11reduce_implILb1ES3_PfS7_fN6thrust23THRUST_200600_302600_NS4plusIfEEEE10hipError_tPvRmT1_T2_T3_mT4_P12ihipStream_tbEUlT_E0_NS1_11comp_targetILNS1_3genE10ELNS1_11target_archE1201ELNS1_3gpuE5ELNS1_3repE0EEENS1_30default_config_static_selectorELNS0_4arch9wavefront6targetE1EEEvSF_
    .private_segment_fixed_size: 0
    .sgpr_count:     4
    .sgpr_spill_count: 0
    .symbol:         _ZN7rocprim17ROCPRIM_400000_NS6detail17trampoline_kernelINS0_14default_configENS1_22reduce_config_selectorIfEEZNS1_11reduce_implILb1ES3_PfS7_fN6thrust23THRUST_200600_302600_NS4plusIfEEEE10hipError_tPvRmT1_T2_T3_mT4_P12ihipStream_tbEUlT_E0_NS1_11comp_targetILNS1_3genE10ELNS1_11target_archE1201ELNS1_3gpuE5ELNS1_3repE0EEENS1_30default_config_static_selectorELNS0_4arch9wavefront6targetE1EEEvSF_.kd
    .uniform_work_group_size: 1
    .uses_dynamic_stack: false
    .vgpr_count:     0
    .vgpr_spill_count: 0
    .wavefront_size: 64
  - .agpr_count:     0
    .args:
      - .offset:         0
        .size:           56
        .value_kind:     by_value
    .group_segment_fixed_size: 0
    .kernarg_segment_align: 8
    .kernarg_segment_size: 56
    .language:       OpenCL C
    .language_version:
      - 2
      - 0
    .max_flat_workgroup_size: 256
    .name:           _ZN7rocprim17ROCPRIM_400000_NS6detail17trampoline_kernelINS0_14default_configENS1_22reduce_config_selectorIfEEZNS1_11reduce_implILb1ES3_PfS7_fN6thrust23THRUST_200600_302600_NS4plusIfEEEE10hipError_tPvRmT1_T2_T3_mT4_P12ihipStream_tbEUlT_E0_NS1_11comp_targetILNS1_3genE10ELNS1_11target_archE1200ELNS1_3gpuE4ELNS1_3repE0EEENS1_30default_config_static_selectorELNS0_4arch9wavefront6targetE1EEEvSF_
    .private_segment_fixed_size: 0
    .sgpr_count:     4
    .sgpr_spill_count: 0
    .symbol:         _ZN7rocprim17ROCPRIM_400000_NS6detail17trampoline_kernelINS0_14default_configENS1_22reduce_config_selectorIfEEZNS1_11reduce_implILb1ES3_PfS7_fN6thrust23THRUST_200600_302600_NS4plusIfEEEE10hipError_tPvRmT1_T2_T3_mT4_P12ihipStream_tbEUlT_E0_NS1_11comp_targetILNS1_3genE10ELNS1_11target_archE1200ELNS1_3gpuE4ELNS1_3repE0EEENS1_30default_config_static_selectorELNS0_4arch9wavefront6targetE1EEEvSF_.kd
    .uniform_work_group_size: 1
    .uses_dynamic_stack: false
    .vgpr_count:     0
    .vgpr_spill_count: 0
    .wavefront_size: 64
  - .agpr_count:     0
    .args:
      - .offset:         0
        .size:           56
        .value_kind:     by_value
    .group_segment_fixed_size: 0
    .kernarg_segment_align: 8
    .kernarg_segment_size: 56
    .language:       OpenCL C
    .language_version:
      - 2
      - 0
    .max_flat_workgroup_size: 256
    .name:           _ZN7rocprim17ROCPRIM_400000_NS6detail17trampoline_kernelINS0_14default_configENS1_22reduce_config_selectorIfEEZNS1_11reduce_implILb1ES3_PfS7_fN6thrust23THRUST_200600_302600_NS4plusIfEEEE10hipError_tPvRmT1_T2_T3_mT4_P12ihipStream_tbEUlT_E0_NS1_11comp_targetILNS1_3genE9ELNS1_11target_archE1100ELNS1_3gpuE3ELNS1_3repE0EEENS1_30default_config_static_selectorELNS0_4arch9wavefront6targetE1EEEvSF_
    .private_segment_fixed_size: 0
    .sgpr_count:     4
    .sgpr_spill_count: 0
    .symbol:         _ZN7rocprim17ROCPRIM_400000_NS6detail17trampoline_kernelINS0_14default_configENS1_22reduce_config_selectorIfEEZNS1_11reduce_implILb1ES3_PfS7_fN6thrust23THRUST_200600_302600_NS4plusIfEEEE10hipError_tPvRmT1_T2_T3_mT4_P12ihipStream_tbEUlT_E0_NS1_11comp_targetILNS1_3genE9ELNS1_11target_archE1100ELNS1_3gpuE3ELNS1_3repE0EEENS1_30default_config_static_selectorELNS0_4arch9wavefront6targetE1EEEvSF_.kd
    .uniform_work_group_size: 1
    .uses_dynamic_stack: false
    .vgpr_count:     0
    .vgpr_spill_count: 0
    .wavefront_size: 64
  - .agpr_count:     0
    .args:
      - .offset:         0
        .size:           56
        .value_kind:     by_value
    .group_segment_fixed_size: 0
    .kernarg_segment_align: 8
    .kernarg_segment_size: 56
    .language:       OpenCL C
    .language_version:
      - 2
      - 0
    .max_flat_workgroup_size: 256
    .name:           _ZN7rocprim17ROCPRIM_400000_NS6detail17trampoline_kernelINS0_14default_configENS1_22reduce_config_selectorIfEEZNS1_11reduce_implILb1ES3_PfS7_fN6thrust23THRUST_200600_302600_NS4plusIfEEEE10hipError_tPvRmT1_T2_T3_mT4_P12ihipStream_tbEUlT_E0_NS1_11comp_targetILNS1_3genE8ELNS1_11target_archE1030ELNS1_3gpuE2ELNS1_3repE0EEENS1_30default_config_static_selectorELNS0_4arch9wavefront6targetE1EEEvSF_
    .private_segment_fixed_size: 0
    .sgpr_count:     4
    .sgpr_spill_count: 0
    .symbol:         _ZN7rocprim17ROCPRIM_400000_NS6detail17trampoline_kernelINS0_14default_configENS1_22reduce_config_selectorIfEEZNS1_11reduce_implILb1ES3_PfS7_fN6thrust23THRUST_200600_302600_NS4plusIfEEEE10hipError_tPvRmT1_T2_T3_mT4_P12ihipStream_tbEUlT_E0_NS1_11comp_targetILNS1_3genE8ELNS1_11target_archE1030ELNS1_3gpuE2ELNS1_3repE0EEENS1_30default_config_static_selectorELNS0_4arch9wavefront6targetE1EEEvSF_.kd
    .uniform_work_group_size: 1
    .uses_dynamic_stack: false
    .vgpr_count:     0
    .vgpr_spill_count: 0
    .wavefront_size: 64
  - .agpr_count:     0
    .args:
      - .offset:         0
        .size:           40
        .value_kind:     by_value
    .group_segment_fixed_size: 0
    .kernarg_segment_align: 8
    .kernarg_segment_size: 40
    .language:       OpenCL C
    .language_version:
      - 2
      - 0
    .max_flat_workgroup_size: 256
    .name:           _ZN7rocprim17ROCPRIM_400000_NS6detail17trampoline_kernelINS0_14default_configENS1_22reduce_config_selectorIfEEZNS1_11reduce_implILb1ES3_PfS7_fN6thrust23THRUST_200600_302600_NS4plusIfEEEE10hipError_tPvRmT1_T2_T3_mT4_P12ihipStream_tbEUlT_E1_NS1_11comp_targetILNS1_3genE0ELNS1_11target_archE4294967295ELNS1_3gpuE0ELNS1_3repE0EEENS1_30default_config_static_selectorELNS0_4arch9wavefront6targetE1EEEvSF_
    .private_segment_fixed_size: 0
    .sgpr_count:     4
    .sgpr_spill_count: 0
    .symbol:         _ZN7rocprim17ROCPRIM_400000_NS6detail17trampoline_kernelINS0_14default_configENS1_22reduce_config_selectorIfEEZNS1_11reduce_implILb1ES3_PfS7_fN6thrust23THRUST_200600_302600_NS4plusIfEEEE10hipError_tPvRmT1_T2_T3_mT4_P12ihipStream_tbEUlT_E1_NS1_11comp_targetILNS1_3genE0ELNS1_11target_archE4294967295ELNS1_3gpuE0ELNS1_3repE0EEENS1_30default_config_static_selectorELNS0_4arch9wavefront6targetE1EEEvSF_.kd
    .uniform_work_group_size: 1
    .uses_dynamic_stack: false
    .vgpr_count:     0
    .vgpr_spill_count: 0
    .wavefront_size: 64
  - .agpr_count:     0
    .args:
      - .offset:         0
        .size:           40
        .value_kind:     by_value
    .group_segment_fixed_size: 0
    .kernarg_segment_align: 8
    .kernarg_segment_size: 40
    .language:       OpenCL C
    .language_version:
      - 2
      - 0
    .max_flat_workgroup_size: 128
    .name:           _ZN7rocprim17ROCPRIM_400000_NS6detail17trampoline_kernelINS0_14default_configENS1_22reduce_config_selectorIfEEZNS1_11reduce_implILb1ES3_PfS7_fN6thrust23THRUST_200600_302600_NS4plusIfEEEE10hipError_tPvRmT1_T2_T3_mT4_P12ihipStream_tbEUlT_E1_NS1_11comp_targetILNS1_3genE5ELNS1_11target_archE942ELNS1_3gpuE9ELNS1_3repE0EEENS1_30default_config_static_selectorELNS0_4arch9wavefront6targetE1EEEvSF_
    .private_segment_fixed_size: 0
    .sgpr_count:     4
    .sgpr_spill_count: 0
    .symbol:         _ZN7rocprim17ROCPRIM_400000_NS6detail17trampoline_kernelINS0_14default_configENS1_22reduce_config_selectorIfEEZNS1_11reduce_implILb1ES3_PfS7_fN6thrust23THRUST_200600_302600_NS4plusIfEEEE10hipError_tPvRmT1_T2_T3_mT4_P12ihipStream_tbEUlT_E1_NS1_11comp_targetILNS1_3genE5ELNS1_11target_archE942ELNS1_3gpuE9ELNS1_3repE0EEENS1_30default_config_static_selectorELNS0_4arch9wavefront6targetE1EEEvSF_.kd
    .uniform_work_group_size: 1
    .uses_dynamic_stack: false
    .vgpr_count:     0
    .vgpr_spill_count: 0
    .wavefront_size: 64
  - .agpr_count:     0
    .args:
      - .offset:         0
        .size:           40
        .value_kind:     by_value
    .group_segment_fixed_size: 56
    .kernarg_segment_align: 8
    .kernarg_segment_size: 40
    .language:       OpenCL C
    .language_version:
      - 2
      - 0
    .max_flat_workgroup_size: 128
    .name:           _ZN7rocprim17ROCPRIM_400000_NS6detail17trampoline_kernelINS0_14default_configENS1_22reduce_config_selectorIfEEZNS1_11reduce_implILb1ES3_PfS7_fN6thrust23THRUST_200600_302600_NS4plusIfEEEE10hipError_tPvRmT1_T2_T3_mT4_P12ihipStream_tbEUlT_E1_NS1_11comp_targetILNS1_3genE4ELNS1_11target_archE910ELNS1_3gpuE8ELNS1_3repE0EEENS1_30default_config_static_selectorELNS0_4arch9wavefront6targetE1EEEvSF_
    .private_segment_fixed_size: 0
    .sgpr_count:     81
    .sgpr_spill_count: 0
    .symbol:         _ZN7rocprim17ROCPRIM_400000_NS6detail17trampoline_kernelINS0_14default_configENS1_22reduce_config_selectorIfEEZNS1_11reduce_implILb1ES3_PfS7_fN6thrust23THRUST_200600_302600_NS4plusIfEEEE10hipError_tPvRmT1_T2_T3_mT4_P12ihipStream_tbEUlT_E1_NS1_11comp_targetILNS1_3genE4ELNS1_11target_archE910ELNS1_3gpuE8ELNS1_3repE0EEENS1_30default_config_static_selectorELNS0_4arch9wavefront6targetE1EEEvSF_.kd
    .uniform_work_group_size: 1
    .uses_dynamic_stack: false
    .vgpr_count:     35
    .vgpr_spill_count: 0
    .wavefront_size: 64
  - .agpr_count:     0
    .args:
      - .offset:         0
        .size:           40
        .value_kind:     by_value
    .group_segment_fixed_size: 0
    .kernarg_segment_align: 8
    .kernarg_segment_size: 40
    .language:       OpenCL C
    .language_version:
      - 2
      - 0
    .max_flat_workgroup_size: 256
    .name:           _ZN7rocprim17ROCPRIM_400000_NS6detail17trampoline_kernelINS0_14default_configENS1_22reduce_config_selectorIfEEZNS1_11reduce_implILb1ES3_PfS7_fN6thrust23THRUST_200600_302600_NS4plusIfEEEE10hipError_tPvRmT1_T2_T3_mT4_P12ihipStream_tbEUlT_E1_NS1_11comp_targetILNS1_3genE3ELNS1_11target_archE908ELNS1_3gpuE7ELNS1_3repE0EEENS1_30default_config_static_selectorELNS0_4arch9wavefront6targetE1EEEvSF_
    .private_segment_fixed_size: 0
    .sgpr_count:     4
    .sgpr_spill_count: 0
    .symbol:         _ZN7rocprim17ROCPRIM_400000_NS6detail17trampoline_kernelINS0_14default_configENS1_22reduce_config_selectorIfEEZNS1_11reduce_implILb1ES3_PfS7_fN6thrust23THRUST_200600_302600_NS4plusIfEEEE10hipError_tPvRmT1_T2_T3_mT4_P12ihipStream_tbEUlT_E1_NS1_11comp_targetILNS1_3genE3ELNS1_11target_archE908ELNS1_3gpuE7ELNS1_3repE0EEENS1_30default_config_static_selectorELNS0_4arch9wavefront6targetE1EEEvSF_.kd
    .uniform_work_group_size: 1
    .uses_dynamic_stack: false
    .vgpr_count:     0
    .vgpr_spill_count: 0
    .wavefront_size: 64
  - .agpr_count:     0
    .args:
      - .offset:         0
        .size:           40
        .value_kind:     by_value
    .group_segment_fixed_size: 0
    .kernarg_segment_align: 8
    .kernarg_segment_size: 40
    .language:       OpenCL C
    .language_version:
      - 2
      - 0
    .max_flat_workgroup_size: 256
    .name:           _ZN7rocprim17ROCPRIM_400000_NS6detail17trampoline_kernelINS0_14default_configENS1_22reduce_config_selectorIfEEZNS1_11reduce_implILb1ES3_PfS7_fN6thrust23THRUST_200600_302600_NS4plusIfEEEE10hipError_tPvRmT1_T2_T3_mT4_P12ihipStream_tbEUlT_E1_NS1_11comp_targetILNS1_3genE2ELNS1_11target_archE906ELNS1_3gpuE6ELNS1_3repE0EEENS1_30default_config_static_selectorELNS0_4arch9wavefront6targetE1EEEvSF_
    .private_segment_fixed_size: 0
    .sgpr_count:     4
    .sgpr_spill_count: 0
    .symbol:         _ZN7rocprim17ROCPRIM_400000_NS6detail17trampoline_kernelINS0_14default_configENS1_22reduce_config_selectorIfEEZNS1_11reduce_implILb1ES3_PfS7_fN6thrust23THRUST_200600_302600_NS4plusIfEEEE10hipError_tPvRmT1_T2_T3_mT4_P12ihipStream_tbEUlT_E1_NS1_11comp_targetILNS1_3genE2ELNS1_11target_archE906ELNS1_3gpuE6ELNS1_3repE0EEENS1_30default_config_static_selectorELNS0_4arch9wavefront6targetE1EEEvSF_.kd
    .uniform_work_group_size: 1
    .uses_dynamic_stack: false
    .vgpr_count:     0
    .vgpr_spill_count: 0
    .wavefront_size: 64
  - .agpr_count:     0
    .args:
      - .offset:         0
        .size:           40
        .value_kind:     by_value
    .group_segment_fixed_size: 0
    .kernarg_segment_align: 8
    .kernarg_segment_size: 40
    .language:       OpenCL C
    .language_version:
      - 2
      - 0
    .max_flat_workgroup_size: 256
    .name:           _ZN7rocprim17ROCPRIM_400000_NS6detail17trampoline_kernelINS0_14default_configENS1_22reduce_config_selectorIfEEZNS1_11reduce_implILb1ES3_PfS7_fN6thrust23THRUST_200600_302600_NS4plusIfEEEE10hipError_tPvRmT1_T2_T3_mT4_P12ihipStream_tbEUlT_E1_NS1_11comp_targetILNS1_3genE10ELNS1_11target_archE1201ELNS1_3gpuE5ELNS1_3repE0EEENS1_30default_config_static_selectorELNS0_4arch9wavefront6targetE1EEEvSF_
    .private_segment_fixed_size: 0
    .sgpr_count:     4
    .sgpr_spill_count: 0
    .symbol:         _ZN7rocprim17ROCPRIM_400000_NS6detail17trampoline_kernelINS0_14default_configENS1_22reduce_config_selectorIfEEZNS1_11reduce_implILb1ES3_PfS7_fN6thrust23THRUST_200600_302600_NS4plusIfEEEE10hipError_tPvRmT1_T2_T3_mT4_P12ihipStream_tbEUlT_E1_NS1_11comp_targetILNS1_3genE10ELNS1_11target_archE1201ELNS1_3gpuE5ELNS1_3repE0EEENS1_30default_config_static_selectorELNS0_4arch9wavefront6targetE1EEEvSF_.kd
    .uniform_work_group_size: 1
    .uses_dynamic_stack: false
    .vgpr_count:     0
    .vgpr_spill_count: 0
    .wavefront_size: 64
  - .agpr_count:     0
    .args:
      - .offset:         0
        .size:           40
        .value_kind:     by_value
    .group_segment_fixed_size: 0
    .kernarg_segment_align: 8
    .kernarg_segment_size: 40
    .language:       OpenCL C
    .language_version:
      - 2
      - 0
    .max_flat_workgroup_size: 256
    .name:           _ZN7rocprim17ROCPRIM_400000_NS6detail17trampoline_kernelINS0_14default_configENS1_22reduce_config_selectorIfEEZNS1_11reduce_implILb1ES3_PfS7_fN6thrust23THRUST_200600_302600_NS4plusIfEEEE10hipError_tPvRmT1_T2_T3_mT4_P12ihipStream_tbEUlT_E1_NS1_11comp_targetILNS1_3genE10ELNS1_11target_archE1200ELNS1_3gpuE4ELNS1_3repE0EEENS1_30default_config_static_selectorELNS0_4arch9wavefront6targetE1EEEvSF_
    .private_segment_fixed_size: 0
    .sgpr_count:     4
    .sgpr_spill_count: 0
    .symbol:         _ZN7rocprim17ROCPRIM_400000_NS6detail17trampoline_kernelINS0_14default_configENS1_22reduce_config_selectorIfEEZNS1_11reduce_implILb1ES3_PfS7_fN6thrust23THRUST_200600_302600_NS4plusIfEEEE10hipError_tPvRmT1_T2_T3_mT4_P12ihipStream_tbEUlT_E1_NS1_11comp_targetILNS1_3genE10ELNS1_11target_archE1200ELNS1_3gpuE4ELNS1_3repE0EEENS1_30default_config_static_selectorELNS0_4arch9wavefront6targetE1EEEvSF_.kd
    .uniform_work_group_size: 1
    .uses_dynamic_stack: false
    .vgpr_count:     0
    .vgpr_spill_count: 0
    .wavefront_size: 64
  - .agpr_count:     0
    .args:
      - .offset:         0
        .size:           40
        .value_kind:     by_value
    .group_segment_fixed_size: 0
    .kernarg_segment_align: 8
    .kernarg_segment_size: 40
    .language:       OpenCL C
    .language_version:
      - 2
      - 0
    .max_flat_workgroup_size: 256
    .name:           _ZN7rocprim17ROCPRIM_400000_NS6detail17trampoline_kernelINS0_14default_configENS1_22reduce_config_selectorIfEEZNS1_11reduce_implILb1ES3_PfS7_fN6thrust23THRUST_200600_302600_NS4plusIfEEEE10hipError_tPvRmT1_T2_T3_mT4_P12ihipStream_tbEUlT_E1_NS1_11comp_targetILNS1_3genE9ELNS1_11target_archE1100ELNS1_3gpuE3ELNS1_3repE0EEENS1_30default_config_static_selectorELNS0_4arch9wavefront6targetE1EEEvSF_
    .private_segment_fixed_size: 0
    .sgpr_count:     4
    .sgpr_spill_count: 0
    .symbol:         _ZN7rocprim17ROCPRIM_400000_NS6detail17trampoline_kernelINS0_14default_configENS1_22reduce_config_selectorIfEEZNS1_11reduce_implILb1ES3_PfS7_fN6thrust23THRUST_200600_302600_NS4plusIfEEEE10hipError_tPvRmT1_T2_T3_mT4_P12ihipStream_tbEUlT_E1_NS1_11comp_targetILNS1_3genE9ELNS1_11target_archE1100ELNS1_3gpuE3ELNS1_3repE0EEENS1_30default_config_static_selectorELNS0_4arch9wavefront6targetE1EEEvSF_.kd
    .uniform_work_group_size: 1
    .uses_dynamic_stack: false
    .vgpr_count:     0
    .vgpr_spill_count: 0
    .wavefront_size: 64
  - .agpr_count:     0
    .args:
      - .offset:         0
        .size:           40
        .value_kind:     by_value
    .group_segment_fixed_size: 0
    .kernarg_segment_align: 8
    .kernarg_segment_size: 40
    .language:       OpenCL C
    .language_version:
      - 2
      - 0
    .max_flat_workgroup_size: 256
    .name:           _ZN7rocprim17ROCPRIM_400000_NS6detail17trampoline_kernelINS0_14default_configENS1_22reduce_config_selectorIfEEZNS1_11reduce_implILb1ES3_PfS7_fN6thrust23THRUST_200600_302600_NS4plusIfEEEE10hipError_tPvRmT1_T2_T3_mT4_P12ihipStream_tbEUlT_E1_NS1_11comp_targetILNS1_3genE8ELNS1_11target_archE1030ELNS1_3gpuE2ELNS1_3repE0EEENS1_30default_config_static_selectorELNS0_4arch9wavefront6targetE1EEEvSF_
    .private_segment_fixed_size: 0
    .sgpr_count:     4
    .sgpr_spill_count: 0
    .symbol:         _ZN7rocprim17ROCPRIM_400000_NS6detail17trampoline_kernelINS0_14default_configENS1_22reduce_config_selectorIfEEZNS1_11reduce_implILb1ES3_PfS7_fN6thrust23THRUST_200600_302600_NS4plusIfEEEE10hipError_tPvRmT1_T2_T3_mT4_P12ihipStream_tbEUlT_E1_NS1_11comp_targetILNS1_3genE8ELNS1_11target_archE1030ELNS1_3gpuE2ELNS1_3repE0EEENS1_30default_config_static_selectorELNS0_4arch9wavefront6targetE1EEEvSF_.kd
    .uniform_work_group_size: 1
    .uses_dynamic_stack: false
    .vgpr_count:     0
    .vgpr_spill_count: 0
    .wavefront_size: 64
  - .agpr_count:     0
    .args:
      - .offset:         0
        .size:           56
        .value_kind:     by_value
    .group_segment_fixed_size: 0
    .kernarg_segment_align: 8
    .kernarg_segment_size: 56
    .language:       OpenCL C
    .language_version:
      - 2
      - 0
    .max_flat_workgroup_size: 256
    .name:           _ZN7rocprim17ROCPRIM_400000_NS6detail17trampoline_kernelINS0_14default_configENS1_22reduce_config_selectorIfEEZNS1_11reduce_implILb1ES3_N6thrust23THRUST_200600_302600_NS11hip_rocprim26transform_input_iterator_tIfNS8_17counting_iteratorIiNS8_11use_defaultESC_SC_EE11estimate_piEEPffNS8_4plusIfEEEE10hipError_tPvRmT1_T2_T3_mT4_P12ihipStream_tbEUlT_E0_NS1_11comp_targetILNS1_3genE0ELNS1_11target_archE4294967295ELNS1_3gpuE0ELNS1_3repE0EEENS1_30default_config_static_selectorELNS0_4arch9wavefront6targetE1EEEvSM_
    .private_segment_fixed_size: 0
    .sgpr_count:     4
    .sgpr_spill_count: 0
    .symbol:         _ZN7rocprim17ROCPRIM_400000_NS6detail17trampoline_kernelINS0_14default_configENS1_22reduce_config_selectorIfEEZNS1_11reduce_implILb1ES3_N6thrust23THRUST_200600_302600_NS11hip_rocprim26transform_input_iterator_tIfNS8_17counting_iteratorIiNS8_11use_defaultESC_SC_EE11estimate_piEEPffNS8_4plusIfEEEE10hipError_tPvRmT1_T2_T3_mT4_P12ihipStream_tbEUlT_E0_NS1_11comp_targetILNS1_3genE0ELNS1_11target_archE4294967295ELNS1_3gpuE0ELNS1_3repE0EEENS1_30default_config_static_selectorELNS0_4arch9wavefront6targetE1EEEvSM_.kd
    .uniform_work_group_size: 1
    .uses_dynamic_stack: false
    .vgpr_count:     0
    .vgpr_spill_count: 0
    .wavefront_size: 64
  - .agpr_count:     0
    .args:
      - .offset:         0
        .size:           56
        .value_kind:     by_value
    .group_segment_fixed_size: 0
    .kernarg_segment_align: 8
    .kernarg_segment_size: 56
    .language:       OpenCL C
    .language_version:
      - 2
      - 0
    .max_flat_workgroup_size: 128
    .name:           _ZN7rocprim17ROCPRIM_400000_NS6detail17trampoline_kernelINS0_14default_configENS1_22reduce_config_selectorIfEEZNS1_11reduce_implILb1ES3_N6thrust23THRUST_200600_302600_NS11hip_rocprim26transform_input_iterator_tIfNS8_17counting_iteratorIiNS8_11use_defaultESC_SC_EE11estimate_piEEPffNS8_4plusIfEEEE10hipError_tPvRmT1_T2_T3_mT4_P12ihipStream_tbEUlT_E0_NS1_11comp_targetILNS1_3genE5ELNS1_11target_archE942ELNS1_3gpuE9ELNS1_3repE0EEENS1_30default_config_static_selectorELNS0_4arch9wavefront6targetE1EEEvSM_
    .private_segment_fixed_size: 0
    .sgpr_count:     4
    .sgpr_spill_count: 0
    .symbol:         _ZN7rocprim17ROCPRIM_400000_NS6detail17trampoline_kernelINS0_14default_configENS1_22reduce_config_selectorIfEEZNS1_11reduce_implILb1ES3_N6thrust23THRUST_200600_302600_NS11hip_rocprim26transform_input_iterator_tIfNS8_17counting_iteratorIiNS8_11use_defaultESC_SC_EE11estimate_piEEPffNS8_4plusIfEEEE10hipError_tPvRmT1_T2_T3_mT4_P12ihipStream_tbEUlT_E0_NS1_11comp_targetILNS1_3genE5ELNS1_11target_archE942ELNS1_3gpuE9ELNS1_3repE0EEENS1_30default_config_static_selectorELNS0_4arch9wavefront6targetE1EEEvSM_.kd
    .uniform_work_group_size: 1
    .uses_dynamic_stack: false
    .vgpr_count:     0
    .vgpr_spill_count: 0
    .wavefront_size: 64
  - .agpr_count:     0
    .args:
      - .offset:         0
        .size:           56
        .value_kind:     by_value
    .group_segment_fixed_size: 16
    .kernarg_segment_align: 8
    .kernarg_segment_size: 56
    .language:       OpenCL C
    .language_version:
      - 2
      - 0
    .max_flat_workgroup_size: 128
    .name:           _ZN7rocprim17ROCPRIM_400000_NS6detail17trampoline_kernelINS0_14default_configENS1_22reduce_config_selectorIfEEZNS1_11reduce_implILb1ES3_N6thrust23THRUST_200600_302600_NS11hip_rocprim26transform_input_iterator_tIfNS8_17counting_iteratorIiNS8_11use_defaultESC_SC_EE11estimate_piEEPffNS8_4plusIfEEEE10hipError_tPvRmT1_T2_T3_mT4_P12ihipStream_tbEUlT_E0_NS1_11comp_targetILNS1_3genE4ELNS1_11target_archE910ELNS1_3gpuE8ELNS1_3repE0EEENS1_30default_config_static_selectorELNS0_4arch9wavefront6targetE1EEEvSM_
    .private_segment_fixed_size: 0
    .sgpr_count:     40
    .sgpr_spill_count: 0
    .symbol:         _ZN7rocprim17ROCPRIM_400000_NS6detail17trampoline_kernelINS0_14default_configENS1_22reduce_config_selectorIfEEZNS1_11reduce_implILb1ES3_N6thrust23THRUST_200600_302600_NS11hip_rocprim26transform_input_iterator_tIfNS8_17counting_iteratorIiNS8_11use_defaultESC_SC_EE11estimate_piEEPffNS8_4plusIfEEEE10hipError_tPvRmT1_T2_T3_mT4_P12ihipStream_tbEUlT_E0_NS1_11comp_targetILNS1_3genE4ELNS1_11target_archE910ELNS1_3gpuE8ELNS1_3repE0EEENS1_30default_config_static_selectorELNS0_4arch9wavefront6targetE1EEEvSM_.kd
    .uniform_work_group_size: 1
    .uses_dynamic_stack: false
    .vgpr_count:     20
    .vgpr_spill_count: 0
    .wavefront_size: 64
  - .agpr_count:     0
    .args:
      - .offset:         0
        .size:           56
        .value_kind:     by_value
    .group_segment_fixed_size: 0
    .kernarg_segment_align: 8
    .kernarg_segment_size: 56
    .language:       OpenCL C
    .language_version:
      - 2
      - 0
    .max_flat_workgroup_size: 256
    .name:           _ZN7rocprim17ROCPRIM_400000_NS6detail17trampoline_kernelINS0_14default_configENS1_22reduce_config_selectorIfEEZNS1_11reduce_implILb1ES3_N6thrust23THRUST_200600_302600_NS11hip_rocprim26transform_input_iterator_tIfNS8_17counting_iteratorIiNS8_11use_defaultESC_SC_EE11estimate_piEEPffNS8_4plusIfEEEE10hipError_tPvRmT1_T2_T3_mT4_P12ihipStream_tbEUlT_E0_NS1_11comp_targetILNS1_3genE3ELNS1_11target_archE908ELNS1_3gpuE7ELNS1_3repE0EEENS1_30default_config_static_selectorELNS0_4arch9wavefront6targetE1EEEvSM_
    .private_segment_fixed_size: 0
    .sgpr_count:     4
    .sgpr_spill_count: 0
    .symbol:         _ZN7rocprim17ROCPRIM_400000_NS6detail17trampoline_kernelINS0_14default_configENS1_22reduce_config_selectorIfEEZNS1_11reduce_implILb1ES3_N6thrust23THRUST_200600_302600_NS11hip_rocprim26transform_input_iterator_tIfNS8_17counting_iteratorIiNS8_11use_defaultESC_SC_EE11estimate_piEEPffNS8_4plusIfEEEE10hipError_tPvRmT1_T2_T3_mT4_P12ihipStream_tbEUlT_E0_NS1_11comp_targetILNS1_3genE3ELNS1_11target_archE908ELNS1_3gpuE7ELNS1_3repE0EEENS1_30default_config_static_selectorELNS0_4arch9wavefront6targetE1EEEvSM_.kd
    .uniform_work_group_size: 1
    .uses_dynamic_stack: false
    .vgpr_count:     0
    .vgpr_spill_count: 0
    .wavefront_size: 64
  - .agpr_count:     0
    .args:
      - .offset:         0
        .size:           56
        .value_kind:     by_value
    .group_segment_fixed_size: 0
    .kernarg_segment_align: 8
    .kernarg_segment_size: 56
    .language:       OpenCL C
    .language_version:
      - 2
      - 0
    .max_flat_workgroup_size: 256
    .name:           _ZN7rocprim17ROCPRIM_400000_NS6detail17trampoline_kernelINS0_14default_configENS1_22reduce_config_selectorIfEEZNS1_11reduce_implILb1ES3_N6thrust23THRUST_200600_302600_NS11hip_rocprim26transform_input_iterator_tIfNS8_17counting_iteratorIiNS8_11use_defaultESC_SC_EE11estimate_piEEPffNS8_4plusIfEEEE10hipError_tPvRmT1_T2_T3_mT4_P12ihipStream_tbEUlT_E0_NS1_11comp_targetILNS1_3genE2ELNS1_11target_archE906ELNS1_3gpuE6ELNS1_3repE0EEENS1_30default_config_static_selectorELNS0_4arch9wavefront6targetE1EEEvSM_
    .private_segment_fixed_size: 0
    .sgpr_count:     4
    .sgpr_spill_count: 0
    .symbol:         _ZN7rocprim17ROCPRIM_400000_NS6detail17trampoline_kernelINS0_14default_configENS1_22reduce_config_selectorIfEEZNS1_11reduce_implILb1ES3_N6thrust23THRUST_200600_302600_NS11hip_rocprim26transform_input_iterator_tIfNS8_17counting_iteratorIiNS8_11use_defaultESC_SC_EE11estimate_piEEPffNS8_4plusIfEEEE10hipError_tPvRmT1_T2_T3_mT4_P12ihipStream_tbEUlT_E0_NS1_11comp_targetILNS1_3genE2ELNS1_11target_archE906ELNS1_3gpuE6ELNS1_3repE0EEENS1_30default_config_static_selectorELNS0_4arch9wavefront6targetE1EEEvSM_.kd
    .uniform_work_group_size: 1
    .uses_dynamic_stack: false
    .vgpr_count:     0
    .vgpr_spill_count: 0
    .wavefront_size: 64
  - .agpr_count:     0
    .args:
      - .offset:         0
        .size:           56
        .value_kind:     by_value
    .group_segment_fixed_size: 0
    .kernarg_segment_align: 8
    .kernarg_segment_size: 56
    .language:       OpenCL C
    .language_version:
      - 2
      - 0
    .max_flat_workgroup_size: 256
    .name:           _ZN7rocprim17ROCPRIM_400000_NS6detail17trampoline_kernelINS0_14default_configENS1_22reduce_config_selectorIfEEZNS1_11reduce_implILb1ES3_N6thrust23THRUST_200600_302600_NS11hip_rocprim26transform_input_iterator_tIfNS8_17counting_iteratorIiNS8_11use_defaultESC_SC_EE11estimate_piEEPffNS8_4plusIfEEEE10hipError_tPvRmT1_T2_T3_mT4_P12ihipStream_tbEUlT_E0_NS1_11comp_targetILNS1_3genE10ELNS1_11target_archE1201ELNS1_3gpuE5ELNS1_3repE0EEENS1_30default_config_static_selectorELNS0_4arch9wavefront6targetE1EEEvSM_
    .private_segment_fixed_size: 0
    .sgpr_count:     4
    .sgpr_spill_count: 0
    .symbol:         _ZN7rocprim17ROCPRIM_400000_NS6detail17trampoline_kernelINS0_14default_configENS1_22reduce_config_selectorIfEEZNS1_11reduce_implILb1ES3_N6thrust23THRUST_200600_302600_NS11hip_rocprim26transform_input_iterator_tIfNS8_17counting_iteratorIiNS8_11use_defaultESC_SC_EE11estimate_piEEPffNS8_4plusIfEEEE10hipError_tPvRmT1_T2_T3_mT4_P12ihipStream_tbEUlT_E0_NS1_11comp_targetILNS1_3genE10ELNS1_11target_archE1201ELNS1_3gpuE5ELNS1_3repE0EEENS1_30default_config_static_selectorELNS0_4arch9wavefront6targetE1EEEvSM_.kd
    .uniform_work_group_size: 1
    .uses_dynamic_stack: false
    .vgpr_count:     0
    .vgpr_spill_count: 0
    .wavefront_size: 64
  - .agpr_count:     0
    .args:
      - .offset:         0
        .size:           56
        .value_kind:     by_value
    .group_segment_fixed_size: 0
    .kernarg_segment_align: 8
    .kernarg_segment_size: 56
    .language:       OpenCL C
    .language_version:
      - 2
      - 0
    .max_flat_workgroup_size: 256
    .name:           _ZN7rocprim17ROCPRIM_400000_NS6detail17trampoline_kernelINS0_14default_configENS1_22reduce_config_selectorIfEEZNS1_11reduce_implILb1ES3_N6thrust23THRUST_200600_302600_NS11hip_rocprim26transform_input_iterator_tIfNS8_17counting_iteratorIiNS8_11use_defaultESC_SC_EE11estimate_piEEPffNS8_4plusIfEEEE10hipError_tPvRmT1_T2_T3_mT4_P12ihipStream_tbEUlT_E0_NS1_11comp_targetILNS1_3genE10ELNS1_11target_archE1200ELNS1_3gpuE4ELNS1_3repE0EEENS1_30default_config_static_selectorELNS0_4arch9wavefront6targetE1EEEvSM_
    .private_segment_fixed_size: 0
    .sgpr_count:     4
    .sgpr_spill_count: 0
    .symbol:         _ZN7rocprim17ROCPRIM_400000_NS6detail17trampoline_kernelINS0_14default_configENS1_22reduce_config_selectorIfEEZNS1_11reduce_implILb1ES3_N6thrust23THRUST_200600_302600_NS11hip_rocprim26transform_input_iterator_tIfNS8_17counting_iteratorIiNS8_11use_defaultESC_SC_EE11estimate_piEEPffNS8_4plusIfEEEE10hipError_tPvRmT1_T2_T3_mT4_P12ihipStream_tbEUlT_E0_NS1_11comp_targetILNS1_3genE10ELNS1_11target_archE1200ELNS1_3gpuE4ELNS1_3repE0EEENS1_30default_config_static_selectorELNS0_4arch9wavefront6targetE1EEEvSM_.kd
    .uniform_work_group_size: 1
    .uses_dynamic_stack: false
    .vgpr_count:     0
    .vgpr_spill_count: 0
    .wavefront_size: 64
  - .agpr_count:     0
    .args:
      - .offset:         0
        .size:           56
        .value_kind:     by_value
    .group_segment_fixed_size: 0
    .kernarg_segment_align: 8
    .kernarg_segment_size: 56
    .language:       OpenCL C
    .language_version:
      - 2
      - 0
    .max_flat_workgroup_size: 256
    .name:           _ZN7rocprim17ROCPRIM_400000_NS6detail17trampoline_kernelINS0_14default_configENS1_22reduce_config_selectorIfEEZNS1_11reduce_implILb1ES3_N6thrust23THRUST_200600_302600_NS11hip_rocprim26transform_input_iterator_tIfNS8_17counting_iteratorIiNS8_11use_defaultESC_SC_EE11estimate_piEEPffNS8_4plusIfEEEE10hipError_tPvRmT1_T2_T3_mT4_P12ihipStream_tbEUlT_E0_NS1_11comp_targetILNS1_3genE9ELNS1_11target_archE1100ELNS1_3gpuE3ELNS1_3repE0EEENS1_30default_config_static_selectorELNS0_4arch9wavefront6targetE1EEEvSM_
    .private_segment_fixed_size: 0
    .sgpr_count:     4
    .sgpr_spill_count: 0
    .symbol:         _ZN7rocprim17ROCPRIM_400000_NS6detail17trampoline_kernelINS0_14default_configENS1_22reduce_config_selectorIfEEZNS1_11reduce_implILb1ES3_N6thrust23THRUST_200600_302600_NS11hip_rocprim26transform_input_iterator_tIfNS8_17counting_iteratorIiNS8_11use_defaultESC_SC_EE11estimate_piEEPffNS8_4plusIfEEEE10hipError_tPvRmT1_T2_T3_mT4_P12ihipStream_tbEUlT_E0_NS1_11comp_targetILNS1_3genE9ELNS1_11target_archE1100ELNS1_3gpuE3ELNS1_3repE0EEENS1_30default_config_static_selectorELNS0_4arch9wavefront6targetE1EEEvSM_.kd
    .uniform_work_group_size: 1
    .uses_dynamic_stack: false
    .vgpr_count:     0
    .vgpr_spill_count: 0
    .wavefront_size: 64
  - .agpr_count:     0
    .args:
      - .offset:         0
        .size:           56
        .value_kind:     by_value
    .group_segment_fixed_size: 0
    .kernarg_segment_align: 8
    .kernarg_segment_size: 56
    .language:       OpenCL C
    .language_version:
      - 2
      - 0
    .max_flat_workgroup_size: 256
    .name:           _ZN7rocprim17ROCPRIM_400000_NS6detail17trampoline_kernelINS0_14default_configENS1_22reduce_config_selectorIfEEZNS1_11reduce_implILb1ES3_N6thrust23THRUST_200600_302600_NS11hip_rocprim26transform_input_iterator_tIfNS8_17counting_iteratorIiNS8_11use_defaultESC_SC_EE11estimate_piEEPffNS8_4plusIfEEEE10hipError_tPvRmT1_T2_T3_mT4_P12ihipStream_tbEUlT_E0_NS1_11comp_targetILNS1_3genE8ELNS1_11target_archE1030ELNS1_3gpuE2ELNS1_3repE0EEENS1_30default_config_static_selectorELNS0_4arch9wavefront6targetE1EEEvSM_
    .private_segment_fixed_size: 0
    .sgpr_count:     4
    .sgpr_spill_count: 0
    .symbol:         _ZN7rocprim17ROCPRIM_400000_NS6detail17trampoline_kernelINS0_14default_configENS1_22reduce_config_selectorIfEEZNS1_11reduce_implILb1ES3_N6thrust23THRUST_200600_302600_NS11hip_rocprim26transform_input_iterator_tIfNS8_17counting_iteratorIiNS8_11use_defaultESC_SC_EE11estimate_piEEPffNS8_4plusIfEEEE10hipError_tPvRmT1_T2_T3_mT4_P12ihipStream_tbEUlT_E0_NS1_11comp_targetILNS1_3genE8ELNS1_11target_archE1030ELNS1_3gpuE2ELNS1_3repE0EEENS1_30default_config_static_selectorELNS0_4arch9wavefront6targetE1EEEvSM_.kd
    .uniform_work_group_size: 1
    .uses_dynamic_stack: false
    .vgpr_count:     0
    .vgpr_spill_count: 0
    .wavefront_size: 64
  - .agpr_count:     0
    .args:
      - .offset:         0
        .size:           40
        .value_kind:     by_value
    .group_segment_fixed_size: 0
    .kernarg_segment_align: 8
    .kernarg_segment_size: 40
    .language:       OpenCL C
    .language_version:
      - 2
      - 0
    .max_flat_workgroup_size: 256
    .name:           _ZN7rocprim17ROCPRIM_400000_NS6detail17trampoline_kernelINS0_14default_configENS1_22reduce_config_selectorIfEEZNS1_11reduce_implILb1ES3_N6thrust23THRUST_200600_302600_NS11hip_rocprim26transform_input_iterator_tIfNS8_17counting_iteratorIiNS8_11use_defaultESC_SC_EE11estimate_piEEPffNS8_4plusIfEEEE10hipError_tPvRmT1_T2_T3_mT4_P12ihipStream_tbEUlT_E1_NS1_11comp_targetILNS1_3genE0ELNS1_11target_archE4294967295ELNS1_3gpuE0ELNS1_3repE0EEENS1_30default_config_static_selectorELNS0_4arch9wavefront6targetE1EEEvSM_
    .private_segment_fixed_size: 0
    .sgpr_count:     4
    .sgpr_spill_count: 0
    .symbol:         _ZN7rocprim17ROCPRIM_400000_NS6detail17trampoline_kernelINS0_14default_configENS1_22reduce_config_selectorIfEEZNS1_11reduce_implILb1ES3_N6thrust23THRUST_200600_302600_NS11hip_rocprim26transform_input_iterator_tIfNS8_17counting_iteratorIiNS8_11use_defaultESC_SC_EE11estimate_piEEPffNS8_4plusIfEEEE10hipError_tPvRmT1_T2_T3_mT4_P12ihipStream_tbEUlT_E1_NS1_11comp_targetILNS1_3genE0ELNS1_11target_archE4294967295ELNS1_3gpuE0ELNS1_3repE0EEENS1_30default_config_static_selectorELNS0_4arch9wavefront6targetE1EEEvSM_.kd
    .uniform_work_group_size: 1
    .uses_dynamic_stack: false
    .vgpr_count:     0
    .vgpr_spill_count: 0
    .wavefront_size: 64
  - .agpr_count:     0
    .args:
      - .offset:         0
        .size:           40
        .value_kind:     by_value
    .group_segment_fixed_size: 0
    .kernarg_segment_align: 8
    .kernarg_segment_size: 40
    .language:       OpenCL C
    .language_version:
      - 2
      - 0
    .max_flat_workgroup_size: 128
    .name:           _ZN7rocprim17ROCPRIM_400000_NS6detail17trampoline_kernelINS0_14default_configENS1_22reduce_config_selectorIfEEZNS1_11reduce_implILb1ES3_N6thrust23THRUST_200600_302600_NS11hip_rocprim26transform_input_iterator_tIfNS8_17counting_iteratorIiNS8_11use_defaultESC_SC_EE11estimate_piEEPffNS8_4plusIfEEEE10hipError_tPvRmT1_T2_T3_mT4_P12ihipStream_tbEUlT_E1_NS1_11comp_targetILNS1_3genE5ELNS1_11target_archE942ELNS1_3gpuE9ELNS1_3repE0EEENS1_30default_config_static_selectorELNS0_4arch9wavefront6targetE1EEEvSM_
    .private_segment_fixed_size: 0
    .sgpr_count:     4
    .sgpr_spill_count: 0
    .symbol:         _ZN7rocprim17ROCPRIM_400000_NS6detail17trampoline_kernelINS0_14default_configENS1_22reduce_config_selectorIfEEZNS1_11reduce_implILb1ES3_N6thrust23THRUST_200600_302600_NS11hip_rocprim26transform_input_iterator_tIfNS8_17counting_iteratorIiNS8_11use_defaultESC_SC_EE11estimate_piEEPffNS8_4plusIfEEEE10hipError_tPvRmT1_T2_T3_mT4_P12ihipStream_tbEUlT_E1_NS1_11comp_targetILNS1_3genE5ELNS1_11target_archE942ELNS1_3gpuE9ELNS1_3repE0EEENS1_30default_config_static_selectorELNS0_4arch9wavefront6targetE1EEEvSM_.kd
    .uniform_work_group_size: 1
    .uses_dynamic_stack: false
    .vgpr_count:     0
    .vgpr_spill_count: 0
    .wavefront_size: 64
  - .agpr_count:     0
    .args:
      - .offset:         0
        .size:           40
        .value_kind:     by_value
    .group_segment_fixed_size: 56
    .kernarg_segment_align: 8
    .kernarg_segment_size: 40
    .language:       OpenCL C
    .language_version:
      - 2
      - 0
    .max_flat_workgroup_size: 128
    .name:           _ZN7rocprim17ROCPRIM_400000_NS6detail17trampoline_kernelINS0_14default_configENS1_22reduce_config_selectorIfEEZNS1_11reduce_implILb1ES3_N6thrust23THRUST_200600_302600_NS11hip_rocprim26transform_input_iterator_tIfNS8_17counting_iteratorIiNS8_11use_defaultESC_SC_EE11estimate_piEEPffNS8_4plusIfEEEE10hipError_tPvRmT1_T2_T3_mT4_P12ihipStream_tbEUlT_E1_NS1_11comp_targetILNS1_3genE4ELNS1_11target_archE910ELNS1_3gpuE8ELNS1_3repE0EEENS1_30default_config_static_selectorELNS0_4arch9wavefront6targetE1EEEvSM_
    .private_segment_fixed_size: 0
    .sgpr_count:     90
    .sgpr_spill_count: 0
    .symbol:         _ZN7rocprim17ROCPRIM_400000_NS6detail17trampoline_kernelINS0_14default_configENS1_22reduce_config_selectorIfEEZNS1_11reduce_implILb1ES3_N6thrust23THRUST_200600_302600_NS11hip_rocprim26transform_input_iterator_tIfNS8_17counting_iteratorIiNS8_11use_defaultESC_SC_EE11estimate_piEEPffNS8_4plusIfEEEE10hipError_tPvRmT1_T2_T3_mT4_P12ihipStream_tbEUlT_E1_NS1_11comp_targetILNS1_3genE4ELNS1_11target_archE910ELNS1_3gpuE8ELNS1_3repE0EEENS1_30default_config_static_selectorELNS0_4arch9wavefront6targetE1EEEvSM_.kd
    .uniform_work_group_size: 1
    .uses_dynamic_stack: false
    .vgpr_count:     44
    .vgpr_spill_count: 0
    .wavefront_size: 64
  - .agpr_count:     0
    .args:
      - .offset:         0
        .size:           40
        .value_kind:     by_value
    .group_segment_fixed_size: 0
    .kernarg_segment_align: 8
    .kernarg_segment_size: 40
    .language:       OpenCL C
    .language_version:
      - 2
      - 0
    .max_flat_workgroup_size: 256
    .name:           _ZN7rocprim17ROCPRIM_400000_NS6detail17trampoline_kernelINS0_14default_configENS1_22reduce_config_selectorIfEEZNS1_11reduce_implILb1ES3_N6thrust23THRUST_200600_302600_NS11hip_rocprim26transform_input_iterator_tIfNS8_17counting_iteratorIiNS8_11use_defaultESC_SC_EE11estimate_piEEPffNS8_4plusIfEEEE10hipError_tPvRmT1_T2_T3_mT4_P12ihipStream_tbEUlT_E1_NS1_11comp_targetILNS1_3genE3ELNS1_11target_archE908ELNS1_3gpuE7ELNS1_3repE0EEENS1_30default_config_static_selectorELNS0_4arch9wavefront6targetE1EEEvSM_
    .private_segment_fixed_size: 0
    .sgpr_count:     4
    .sgpr_spill_count: 0
    .symbol:         _ZN7rocprim17ROCPRIM_400000_NS6detail17trampoline_kernelINS0_14default_configENS1_22reduce_config_selectorIfEEZNS1_11reduce_implILb1ES3_N6thrust23THRUST_200600_302600_NS11hip_rocprim26transform_input_iterator_tIfNS8_17counting_iteratorIiNS8_11use_defaultESC_SC_EE11estimate_piEEPffNS8_4plusIfEEEE10hipError_tPvRmT1_T2_T3_mT4_P12ihipStream_tbEUlT_E1_NS1_11comp_targetILNS1_3genE3ELNS1_11target_archE908ELNS1_3gpuE7ELNS1_3repE0EEENS1_30default_config_static_selectorELNS0_4arch9wavefront6targetE1EEEvSM_.kd
    .uniform_work_group_size: 1
    .uses_dynamic_stack: false
    .vgpr_count:     0
    .vgpr_spill_count: 0
    .wavefront_size: 64
  - .agpr_count:     0
    .args:
      - .offset:         0
        .size:           40
        .value_kind:     by_value
    .group_segment_fixed_size: 0
    .kernarg_segment_align: 8
    .kernarg_segment_size: 40
    .language:       OpenCL C
    .language_version:
      - 2
      - 0
    .max_flat_workgroup_size: 256
    .name:           _ZN7rocprim17ROCPRIM_400000_NS6detail17trampoline_kernelINS0_14default_configENS1_22reduce_config_selectorIfEEZNS1_11reduce_implILb1ES3_N6thrust23THRUST_200600_302600_NS11hip_rocprim26transform_input_iterator_tIfNS8_17counting_iteratorIiNS8_11use_defaultESC_SC_EE11estimate_piEEPffNS8_4plusIfEEEE10hipError_tPvRmT1_T2_T3_mT4_P12ihipStream_tbEUlT_E1_NS1_11comp_targetILNS1_3genE2ELNS1_11target_archE906ELNS1_3gpuE6ELNS1_3repE0EEENS1_30default_config_static_selectorELNS0_4arch9wavefront6targetE1EEEvSM_
    .private_segment_fixed_size: 0
    .sgpr_count:     4
    .sgpr_spill_count: 0
    .symbol:         _ZN7rocprim17ROCPRIM_400000_NS6detail17trampoline_kernelINS0_14default_configENS1_22reduce_config_selectorIfEEZNS1_11reduce_implILb1ES3_N6thrust23THRUST_200600_302600_NS11hip_rocprim26transform_input_iterator_tIfNS8_17counting_iteratorIiNS8_11use_defaultESC_SC_EE11estimate_piEEPffNS8_4plusIfEEEE10hipError_tPvRmT1_T2_T3_mT4_P12ihipStream_tbEUlT_E1_NS1_11comp_targetILNS1_3genE2ELNS1_11target_archE906ELNS1_3gpuE6ELNS1_3repE0EEENS1_30default_config_static_selectorELNS0_4arch9wavefront6targetE1EEEvSM_.kd
    .uniform_work_group_size: 1
    .uses_dynamic_stack: false
    .vgpr_count:     0
    .vgpr_spill_count: 0
    .wavefront_size: 64
  - .agpr_count:     0
    .args:
      - .offset:         0
        .size:           40
        .value_kind:     by_value
    .group_segment_fixed_size: 0
    .kernarg_segment_align: 8
    .kernarg_segment_size: 40
    .language:       OpenCL C
    .language_version:
      - 2
      - 0
    .max_flat_workgroup_size: 256
    .name:           _ZN7rocprim17ROCPRIM_400000_NS6detail17trampoline_kernelINS0_14default_configENS1_22reduce_config_selectorIfEEZNS1_11reduce_implILb1ES3_N6thrust23THRUST_200600_302600_NS11hip_rocprim26transform_input_iterator_tIfNS8_17counting_iteratorIiNS8_11use_defaultESC_SC_EE11estimate_piEEPffNS8_4plusIfEEEE10hipError_tPvRmT1_T2_T3_mT4_P12ihipStream_tbEUlT_E1_NS1_11comp_targetILNS1_3genE10ELNS1_11target_archE1201ELNS1_3gpuE5ELNS1_3repE0EEENS1_30default_config_static_selectorELNS0_4arch9wavefront6targetE1EEEvSM_
    .private_segment_fixed_size: 0
    .sgpr_count:     4
    .sgpr_spill_count: 0
    .symbol:         _ZN7rocprim17ROCPRIM_400000_NS6detail17trampoline_kernelINS0_14default_configENS1_22reduce_config_selectorIfEEZNS1_11reduce_implILb1ES3_N6thrust23THRUST_200600_302600_NS11hip_rocprim26transform_input_iterator_tIfNS8_17counting_iteratorIiNS8_11use_defaultESC_SC_EE11estimate_piEEPffNS8_4plusIfEEEE10hipError_tPvRmT1_T2_T3_mT4_P12ihipStream_tbEUlT_E1_NS1_11comp_targetILNS1_3genE10ELNS1_11target_archE1201ELNS1_3gpuE5ELNS1_3repE0EEENS1_30default_config_static_selectorELNS0_4arch9wavefront6targetE1EEEvSM_.kd
    .uniform_work_group_size: 1
    .uses_dynamic_stack: false
    .vgpr_count:     0
    .vgpr_spill_count: 0
    .wavefront_size: 64
  - .agpr_count:     0
    .args:
      - .offset:         0
        .size:           40
        .value_kind:     by_value
    .group_segment_fixed_size: 0
    .kernarg_segment_align: 8
    .kernarg_segment_size: 40
    .language:       OpenCL C
    .language_version:
      - 2
      - 0
    .max_flat_workgroup_size: 256
    .name:           _ZN7rocprim17ROCPRIM_400000_NS6detail17trampoline_kernelINS0_14default_configENS1_22reduce_config_selectorIfEEZNS1_11reduce_implILb1ES3_N6thrust23THRUST_200600_302600_NS11hip_rocprim26transform_input_iterator_tIfNS8_17counting_iteratorIiNS8_11use_defaultESC_SC_EE11estimate_piEEPffNS8_4plusIfEEEE10hipError_tPvRmT1_T2_T3_mT4_P12ihipStream_tbEUlT_E1_NS1_11comp_targetILNS1_3genE10ELNS1_11target_archE1200ELNS1_3gpuE4ELNS1_3repE0EEENS1_30default_config_static_selectorELNS0_4arch9wavefront6targetE1EEEvSM_
    .private_segment_fixed_size: 0
    .sgpr_count:     4
    .sgpr_spill_count: 0
    .symbol:         _ZN7rocprim17ROCPRIM_400000_NS6detail17trampoline_kernelINS0_14default_configENS1_22reduce_config_selectorIfEEZNS1_11reduce_implILb1ES3_N6thrust23THRUST_200600_302600_NS11hip_rocprim26transform_input_iterator_tIfNS8_17counting_iteratorIiNS8_11use_defaultESC_SC_EE11estimate_piEEPffNS8_4plusIfEEEE10hipError_tPvRmT1_T2_T3_mT4_P12ihipStream_tbEUlT_E1_NS1_11comp_targetILNS1_3genE10ELNS1_11target_archE1200ELNS1_3gpuE4ELNS1_3repE0EEENS1_30default_config_static_selectorELNS0_4arch9wavefront6targetE1EEEvSM_.kd
    .uniform_work_group_size: 1
    .uses_dynamic_stack: false
    .vgpr_count:     0
    .vgpr_spill_count: 0
    .wavefront_size: 64
  - .agpr_count:     0
    .args:
      - .offset:         0
        .size:           40
        .value_kind:     by_value
    .group_segment_fixed_size: 0
    .kernarg_segment_align: 8
    .kernarg_segment_size: 40
    .language:       OpenCL C
    .language_version:
      - 2
      - 0
    .max_flat_workgroup_size: 256
    .name:           _ZN7rocprim17ROCPRIM_400000_NS6detail17trampoline_kernelINS0_14default_configENS1_22reduce_config_selectorIfEEZNS1_11reduce_implILb1ES3_N6thrust23THRUST_200600_302600_NS11hip_rocprim26transform_input_iterator_tIfNS8_17counting_iteratorIiNS8_11use_defaultESC_SC_EE11estimate_piEEPffNS8_4plusIfEEEE10hipError_tPvRmT1_T2_T3_mT4_P12ihipStream_tbEUlT_E1_NS1_11comp_targetILNS1_3genE9ELNS1_11target_archE1100ELNS1_3gpuE3ELNS1_3repE0EEENS1_30default_config_static_selectorELNS0_4arch9wavefront6targetE1EEEvSM_
    .private_segment_fixed_size: 0
    .sgpr_count:     4
    .sgpr_spill_count: 0
    .symbol:         _ZN7rocprim17ROCPRIM_400000_NS6detail17trampoline_kernelINS0_14default_configENS1_22reduce_config_selectorIfEEZNS1_11reduce_implILb1ES3_N6thrust23THRUST_200600_302600_NS11hip_rocprim26transform_input_iterator_tIfNS8_17counting_iteratorIiNS8_11use_defaultESC_SC_EE11estimate_piEEPffNS8_4plusIfEEEE10hipError_tPvRmT1_T2_T3_mT4_P12ihipStream_tbEUlT_E1_NS1_11comp_targetILNS1_3genE9ELNS1_11target_archE1100ELNS1_3gpuE3ELNS1_3repE0EEENS1_30default_config_static_selectorELNS0_4arch9wavefront6targetE1EEEvSM_.kd
    .uniform_work_group_size: 1
    .uses_dynamic_stack: false
    .vgpr_count:     0
    .vgpr_spill_count: 0
    .wavefront_size: 64
  - .agpr_count:     0
    .args:
      - .offset:         0
        .size:           40
        .value_kind:     by_value
    .group_segment_fixed_size: 0
    .kernarg_segment_align: 8
    .kernarg_segment_size: 40
    .language:       OpenCL C
    .language_version:
      - 2
      - 0
    .max_flat_workgroup_size: 256
    .name:           _ZN7rocprim17ROCPRIM_400000_NS6detail17trampoline_kernelINS0_14default_configENS1_22reduce_config_selectorIfEEZNS1_11reduce_implILb1ES3_N6thrust23THRUST_200600_302600_NS11hip_rocprim26transform_input_iterator_tIfNS8_17counting_iteratorIiNS8_11use_defaultESC_SC_EE11estimate_piEEPffNS8_4plusIfEEEE10hipError_tPvRmT1_T2_T3_mT4_P12ihipStream_tbEUlT_E1_NS1_11comp_targetILNS1_3genE8ELNS1_11target_archE1030ELNS1_3gpuE2ELNS1_3repE0EEENS1_30default_config_static_selectorELNS0_4arch9wavefront6targetE1EEEvSM_
    .private_segment_fixed_size: 0
    .sgpr_count:     4
    .sgpr_spill_count: 0
    .symbol:         _ZN7rocprim17ROCPRIM_400000_NS6detail17trampoline_kernelINS0_14default_configENS1_22reduce_config_selectorIfEEZNS1_11reduce_implILb1ES3_N6thrust23THRUST_200600_302600_NS11hip_rocprim26transform_input_iterator_tIfNS8_17counting_iteratorIiNS8_11use_defaultESC_SC_EE11estimate_piEEPffNS8_4plusIfEEEE10hipError_tPvRmT1_T2_T3_mT4_P12ihipStream_tbEUlT_E1_NS1_11comp_targetILNS1_3genE8ELNS1_11target_archE1030ELNS1_3gpuE2ELNS1_3repE0EEENS1_30default_config_static_selectorELNS0_4arch9wavefront6targetE1EEEvSM_.kd
    .uniform_work_group_size: 1
    .uses_dynamic_stack: false
    .vgpr_count:     0
    .vgpr_spill_count: 0
    .wavefront_size: 64
amdhsa.target:   amdgcn-amd-amdhsa--gfx90a
amdhsa.version:
  - 1
  - 2
...

	.end_amdgpu_metadata
